;; amdgpu-corpus repo=ROCm/aiter kind=harvested arch=n/a opt=n/a

/root/src/amdgpu-assembly/repos/ROCm__aiter/hsa/gfx950/f4gemm/f4gemm_bf16_per1x32Fp4_BpreShuffle_64x896.co:	file format elf64-amdgpu

Disassembly of section .text:

0000000000002c00 <_ZN5aiter41f4gemm_bf16_per1x32Fp4_BpreShuffle_64x896E>:
	s_and_b32 s1, s1, 0xffff                                   // 000000002C00: 8601FF01 0000FFFF
	s_load_dwordx2 s[4:5], s[0:1], 0x0                         // 000000002C08: C0060100 00000000
	s_load_dwordx2 s[8:9], s[0:1], 0x10                        // 000000002C10: C0060200 00000010
	s_load_dwordx2 s[12:13], s[0:1], 0x20                      // 000000002C18: C0060300 00000020
	s_load_dwordx2 s[16:17], s[0:1], 0x30                      // 000000002C20: C0060400 00000030
	s_load_dword s41, s[0:1], 0x40                             // 000000002C28: C0020A40 00000040
	s_load_dword s42, s[0:1], 0x50                             // 000000002C30: C0020A80 00000050
	s_load_dword s36, s[0:1], 0x80                             // 000000002C38: C0020900 00000080
	s_load_dword s37, s[0:1], 0xa0                             // 000000002C40: C0020940 000000A0
	s_load_dword s38, s[0:1], 0xc0                             // 000000002C48: C0020980 000000C0
	s_load_dword s43, s[0:1], 0xe0                             // 000000002C50: C0020AC0 000000E0
	s_load_dword s44, s[0:1], 0xf0                             // 000000002C58: C0020B00 000000F0
	s_load_dword s45, s[0:1], 0x100                            // 000000002C60: C0020B40 00000100
	s_load_dwordx2 s[20:21], s[0:1], 0x110                     // 000000002C68: C0060500 00000110
	s_load_dwordx2 s[24:25], s[0:1], 0x120                     // 000000002C70: C0060600 00000120
	s_load_dword s39, s[0:1], 0x130                            // 000000002C78: C00209C0 00000130
	s_load_dword s40, s[0:1], 0x150                            // 000000002C80: C0020A00 00000150
	v_lshrrev_b32_e32 v1, 10, v0                               // 000000002C88: 2002008A
	v_lshrrev_b32_e32 v2, 10, v1                               // 000000002C8C: 2004028A
	v_and_b32_e32 v2, 0x3ff, v2                                // 000000002C90: 260404FF 000003FF
	v_and_b32_e32 v1, 0x3ff, v1                                // 000000002C98: 260202FF 000003FF
	v_and_b32_e32 v0, 0x3ff, v0                                // 000000002CA0: 260000FF 000003FF
	v_lshrrev_b32_e32 v3, 6, v0                                // 000000002CA8: 20060086
	v_and_b32_e32 v0, 63, v0                                   // 000000002CAC: 260000BF
	s_mov_b32 s47, s2                                          // 000000002CB0: BEAF0002
	s_mov_b32 s48, s3                                          // 000000002CB4: BEB00003
	v_readfirstlane_b32 s46, v3                                // 000000002CB8: 7E5C0503
	s_waitcnt lgkmcnt(0)                                       // 000000002CBC: BF8CC07F
	s_add_u32 s51, s44, 0x37f                                  // 000000002CC0: 8033FF2C 0000037F
	s_mov_b32 s63, 0x380                                       // 000000002CC8: BEBF00FF 00000380
	v_cvt_f32_u32_e32 v4, s63                                  // 000000002CD0: 7E080C3F
	s_sub_i32 s50, 0, s63                                      // 000000002CD4: 81B23F80
	v_rcp_iflag_f32_e32 v4, v4                                 // 000000002CD8: 7E084704
	s_nop 0                                                    // 000000002CDC: BF800000
	v_mul_f32_e32 v4, 0x4f7ffffe, v4                           // 000000002CE0: 0A0808FF 4F7FFFFE
	v_cvt_u32_f32_e32 v4, v4                                   // 000000002CE8: 7E080F04
	v_mul_lo_u32 v5, s50, v4                                   // 000000002CEC: D2850005 00020832
	v_mul_hi_u32 v5, v4, v5                                    // 000000002CF4: D2860005 00020B04
	v_add_u32_e32 v4, v4, v5                                   // 000000002CFC: 68080B04
	v_mul_hi_u32 v4, s51, v4                                   // 000000002D00: D2860004 00020833
	v_mul_lo_u32 v5, v4, s63                                   // 000000002D08: D2850005 00007F04
	v_sub_u32_e32 v7, s51, v5                                  // 000000002D10: 6A0E0A33
	v_add_u32_e32 v6, 1, v4                                    // 000000002D14: 680C0881
	v_cmp_le_u32_e32 vcc, s63, v7                              // 000000002D18: 7D960E3F
	v_subrev_u32_e32 v5, s63, v7                               // 000000002D1C: 6C0A0E3F
	s_nop 0                                                    // 000000002D20: BF800000
	v_cndmask_b32_e32 v4, v4, v6, vcc                          // 000000002D24: 00080D04
	v_cndmask_b32_e32 v7, v7, v5, vcc                          // 000000002D28: 000E0B07
	v_add_u32_e32 v5, 1, v4                                    // 000000002D2C: 680A0881
	v_cmp_le_u32_e32 vcc, s63, v7                              // 000000002D30: 7D960E3F
	s_nop 1                                                    // 000000002D34: BF800001
	v_cndmask_b32_e32 v7, v4, v5, vcc                          // 000000002D38: 000E0B04
	s_nop 3                                                    // 000000002D3C: BF800003
	v_readfirstlane_b32 s50, v7                                // 000000002D40: 7E640507
	s_nop 3                                                    // 000000002D44: BF800003
	s_mul_i32 s49, s50, s48                                    // 000000002D48: 92313032
	s_add_i32 s49, s49, s47                                    // 000000002D4C: 81312F31
	s_add_u32 s51, s43, 63                                     // 000000002D50: 8033BF2B
	s_lshr_b32 s62, s51, 6                                     // 000000002D54: 8F3E8633
	s_lshl_b32 s62, s62, 5                                     // 000000002D58: 8E3E853E
	s_mov_b32 s47, 0                                           // 000000002D5C: BEAF0080

0000000000002d60 <label_0058>:
	s_cmp_lt_i32 s49, s62                                      // 000000002D60: BF043E31
	s_cbranch_scc1 label_005D                                  // 000000002D64: BF850003
	s_sub_i32 s49, s49, s62                                    // 000000002D68: 81B13E31
	s_add_i32 s47, s47, 32                                     // 000000002D6C: 812FA02F
	s_branch label_0058                                        // 000000002D70: BF82FFFB

0000000000002d74 <label_005D>:
	s_sub_i32 s50, s50, s47                                    // 000000002D74: 81B22F32
	s_cmp_lt_i32 s50, 32                                       // 000000002D78: BF04A032
	s_cbranch_scc1 label_0063                                  // 000000002D7C: BF850003
	s_lshr_b32 s48, s49, 5                                     // 000000002D80: 8F308531
	s_and_b32 s62, s49, 31                                     // 000000002D84: 863E9F31
	s_branch label_0083                                        // 000000002D88: BF820020

0000000000002d8c <label_0063>:
	v_cvt_f32_u32_e32 v4, s50                                  // 000000002D8C: 7E080C32
	s_sub_i32 s48, 0, s50                                      // 000000002D90: 81B03280
	v_rcp_iflag_f32_e32 v4, v4                                 // 000000002D94: 7E084704
	s_nop 0                                                    // 000000002D98: BF800000
	v_mul_f32_e32 v4, 0x4f7ffffe, v4                           // 000000002D9C: 0A0808FF 4F7FFFFE
	v_cvt_u32_f32_e32 v4, v4                                   // 000000002DA4: 7E080F04
	v_mul_lo_u32 v5, s48, v4                                   // 000000002DA8: D2850005 00020830
	v_mul_hi_u32 v5, v4, v5                                    // 000000002DB0: D2860005 00020B04
	v_add_u32_e32 v4, v4, v5                                   // 000000002DB8: 68080B04
	v_mul_hi_u32 v4, s49, v4                                   // 000000002DBC: D2860004 00020831
	v_mul_lo_u32 v5, v4, s50                                   // 000000002DC4: D2850005 00006504
	v_sub_u32_e32 v7, s49, v5                                  // 000000002DCC: 6A0E0A31
	v_add_u32_e32 v6, 1, v4                                    // 000000002DD0: 680C0881
	v_cmp_le_u32_e32 vcc, s50, v7                              // 000000002DD4: 7D960E32
	v_subrev_u32_e32 v5, s50, v7                               // 000000002DD8: 6C0A0E32
	s_nop 0                                                    // 000000002DDC: BF800000
	v_cndmask_b32_e32 v4, v4, v6, vcc                          // 000000002DE0: 00080D04
	v_cndmask_b32_e32 v7, v7, v5, vcc                          // 000000002DE4: 000E0B07
	v_add_u32_e32 v5, 1, v4                                    // 000000002DE8: 680A0881
	v_cmp_le_u32_e32 vcc, s50, v7                              // 000000002DEC: 7D960E32
	s_nop 1                                                    // 000000002DF0: BF800001
	v_cndmask_b32_e32 v7, v4, v5, vcc                          // 000000002DF4: 000E0B04
	s_nop 3                                                    // 000000002DF8: BF800003
	v_readfirstlane_b32 s48, v7                                // 000000002DFC: 7E600507
	s_nop 3                                                    // 000000002E00: BF800003
	s_mul_i32 s62, s50, s48                                    // 000000002E04: 923E3032
	s_sub_i32 s62, s49, s62                                    // 000000002E08: 81BE3E31

0000000000002e0c <label_0083>:
	s_add_i32 s47, s62, s47                                    // 000000002E0C: 812F2F3E
	s_lshr_b32 s37, s37, 1                                     // 000000002E10: 8F258125
	s_mul_i32 s62, s48, 64                                     // 000000002E14: 923EC030
	s_mul_hi_u32 s63, s37, s62                                 // 000000002E18: 963F3E25
	s_add_u32 s13, s13, s63                                    // 000000002E1C: 800D3F0D
	s_mul_i32 s63, s37, s62                                    // 000000002E20: 923F3E25
	s_add_u32 s12, s12, s63                                    // 000000002E24: 800C3F0C
	s_addc_u32 s13, s13, 0                                     // 000000002E28: 820D800D
	s_sub_i32 s63, s43, s62                                    // 000000002E2C: 81BF3E2B
	s_cmp_lt_u32 s63, 64                                       // 000000002E30: BF0AC03F
	s_cselect_b32 s62, s63, 64                                 // 000000002E34: 853EC03F
	s_mul_i32 s14, s37, s62                                    // 000000002E38: 920E3E25
	s_mov_b32 s15, 0x20000                                     // 000000002E3C: BE8F00FF 00020000
	v_lshrrev_b32_e32 v4, 3, v0                                // 000000002E44: 20080083
	v_lshrrev_b32_e32 v5, 2, v4                                // 000000002E48: 200A0882
	v_lshlrev_b32_e32 v5, 4, v5                                // 000000002E4C: 240A0A84
	v_and_b32_e32 v4, 3, v4                                    // 000000002E50: 26080883
	v_lshrrev_b32_e32 v6, 1, v4                                // 000000002E54: 200C0881
	v_lshlrev_b32_e32 v6, 2, v6                                // 000000002E58: 240C0C82
	v_add_u32_e32 v5, v5, v6                                   // 000000002E5C: 680A0D05
	v_and_b32_e32 v4, 1, v4                                    // 000000002E60: 26080881
	v_add_u32_e32 v5, v5, v4                                   // 000000002E64: 680A0905
	v_mul_lo_u32 v195, s37, v5                                 // 000000002E68: D28500C3 00020A25
	v_and_b32_e32 v4, 7, v0                                    // 000000002E70: 26080087
	v_lshlrev_b32_e32 v4, 4, v4                                // 000000002E74: 24080884
	v_add_u32_e32 v195, v4, v195                               // 000000002E78: 69878704
	s_lshr_b32 s62, s46, 1                                     // 000000002E7C: 8F3E812E
	s_mul_i32 s62, s62, 8                                      // 000000002E80: 923E883E
	s_and_b32 s63, s46, 1                                      // 000000002E84: 863F812E
	s_mul_i32 s63, s63, 2                                      // 000000002E88: 923F823F
	s_add_u32 s62, s62, s63                                    // 000000002E8C: 803E3F3E
	s_mul_i32 s62, s37, s62                                    // 000000002E90: 923E3E25
	v_add_u32_e32 v195, s62, v195                              // 000000002E94: 6987863E
	s_mul_i32 s62, s37, 32                                     // 000000002E98: 923EA025
	v_add_u32_e32 v196, s62, v195                              // 000000002E9C: 6989863E
	s_mul_i32 s64, 0x420, s46                                  // 000000002EA0: 92402EFF 00000420
	s_add_u32 s64, 0x800, s64                                  // 000000002EA8: 804040FF 00000800
	v_and_b32_e32 v4, 15, v0                                   // 000000002EB0: 2608008F
	v_lshrrev_b32_e32 v5, 3, v4                                // 000000002EB4: 200A0883
	v_mul_i32_i24_e32 v5, 2, v5                                // 000000002EB8: 0C0A0A82
	v_and_b32_e32 v4, 3, v0                                    // 000000002EBC: 26080083
	v_lshrrev_b32_e32 v6, 1, v4                                // 000000002EC0: 200C0881
	v_add_u32_e32 v4, v5, v6                                   // 000000002EC4: 68080D05
	v_mul_i32_i24_e32 v197, 0x420, v4                          // 000000002EC8: 0D8A08FF 00000420
	v_and_b32_e32 v4, 7, v0                                    // 000000002ED0: 26080087
	v_lshrrev_b32_e32 v5, 2, v4                                // 000000002ED4: 200A0882
	v_mul_i32_i24_e32 v5, 0x100, v5                            // 000000002ED8: 0C0A0AFF 00000100
	v_add_u32_e32 v197, v5, v197                               // 000000002EE0: 698B8B05
	v_and_b32_e32 v4, 1, v0                                    // 000000002EE4: 26080081
	v_mul_i32_i24_e32 v6, 0x80, v4                             // 000000002EE8: 0C0C08FF 00000080
	v_add_u32_e32 v197, v6, v197                               // 000000002EF0: 698B8B06
	v_lshrrev_b32_e32 v4, 4, v0                                // 000000002EF4: 20080084
	v_mul_i32_i24_e32 v4, 16, v4                               // 000000002EF8: 0C080890
	v_add_u32_e32 v197, v4, v197                               // 000000002EFC: 698B8B04
	v_add_u32_e32 v197, 0x800, v197                            // 000000002F00: 698B8AFF 00000800
	v_add_u32_e32 v198, 0x2100, v197                           // 000000002F08: 698D8AFF 00002100
	s_mul_i32 s62, s48, 64                                     // 000000002F10: 923EC030
	s_mul_hi_u32 s63, s39, s62                                 // 000000002F14: 963F3E27
	s_add_u32 s21, s21, s63                                    // 000000002F18: 80153F15
	s_mul_i32 s63, s39, s62                                    // 000000002F1C: 923F3E27
	s_add_u32 s20, s20, s63                                    // 000000002F20: 80143F14
	s_addc_u32 s21, s21, 0                                     // 000000002F24: 82158015
	s_add_u32 s63, s43, 31                                     // 000000002F28: 803F9F2B
	s_lshr_b32 s63, s63, 5                                     // 000000002F2C: 8F3F853F
	s_lshl_b32 s63, s63, 5                                     // 000000002F30: 8E3F853F
	s_sub_i32 s63, s63, s62                                    // 000000002F34: 81BF3E3F
	s_cmp_lt_u32 s63, 64                                       // 000000002F38: BF0AC03F
	s_cselect_b32 s62, s63, 64                                 // 000000002F3C: 853EC03F
	s_mul_i32 s22, s39, s62                                    // 000000002F40: 92163E27
	s_mov_b32 s23, 0x20000                                     // 000000002F44: BE9700FF 00020000
	v_lshlrev_b32_e32 v199, 2, v0                              // 000000002F4C: 258E0082
	s_mul_i32 s63, s46, 32                                     // 000000002F50: 923FA02E
	s_mul_i32 s63, s63, s39                                    // 000000002F54: 923F273F
	v_add_u32_e32 v199, s63, v199                              // 000000002F58: 698F8E3F
	s_mul_i32 s65, s46, 0x100                                  // 000000002F5C: 9241FF2E 00000100
	s_add_i32 s65, s65, 0                                      // 000000002F64: 81418041
	v_lshlrev_b32_e32 v200, 2, v0                              // 000000002F68: 25900082
	v_add_u32_e32 v200, 0, v200                                // 000000002F6C: 69919080
	s_lshr_b32 s38, s38, 1                                     // 000000002F70: 8F268126
	s_mul_i32 s62, s47, 0x380                                  // 000000002F74: 923EFF2F 00000380
	s_mul_hi_u32 s63, s38, s62                                 // 000000002F7C: 963F3E26
	s_add_u32 s17, s17, s63                                    // 000000002F80: 80113F11
	s_mul_i32 s63, s38, s62                                    // 000000002F84: 923F3E26
	s_add_u32 s16, s16, s63                                    // 000000002F88: 80103F10
	s_addc_u32 s17, s17, 0                                     // 000000002F8C: 82118011
	s_sub_i32 s63, s44, s62                                    // 000000002F90: 81BF3E2C
	s_cmp_lt_u32 s63, 0x380                                    // 000000002F94: BF0AFF3F 00000380
	s_cselect_b32 s62, s63, 0x380                              // 000000002F9C: 853EFF3F 00000380
	s_mul_i32 s18, s38, s62                                    // 000000002FA4: 92123E26
	s_mov_b32 s19, 0x20000                                     // 000000002FA8: BE9300FF 00020000
	v_lshlrev_b32_e32 v201, 4, v0                              // 000000002FB0: 25920084
	s_mul_i32 s63, s46, 0xe0                                   // 000000002FB4: 923FFF2E 000000E0
	s_mul_i32 s62, s63, s38                                    // 000000002FBC: 923E263F
	v_add_u32_e32 v201, s62, v201                              // 000000002FC0: 6993923E
	s_mul_i32 s62, 16, s38                                     // 000000002FC4: 923E2690
	v_add_u32_e32 v202, s62, v201                              // 000000002FC8: 6995923E
	v_add_u32_e32 v203, s62, v202                              // 000000002FCC: 6997943E
	v_add_u32_e32 v204, s62, v203                              // 000000002FD0: 6999963E
	v_add_u32_e32 v205, s62, v204                              // 000000002FD4: 699B983E
	v_add_u32_e32 v206, s62, v205                              // 000000002FD8: 699D9A3E
	v_add_u32_e32 v207, s62, v206                              // 000000002FDC: 699F9C3E
	v_add_u32_e32 v208, s62, v207                              // 000000002FE0: 69A19E3E
	v_add_u32_e32 v209, s62, v208                              // 000000002FE4: 69A3A03E
	v_add_u32_e32 v210, s62, v209                              // 000000002FE8: 69A5A23E
	v_add_u32_e32 v211, s62, v210                              // 000000002FEC: 69A7A43E
	v_add_u32_e32 v212, s62, v211                              // 000000002FF0: 69A9A63E
	v_add_u32_e32 v213, s62, v212                              // 000000002FF4: 69ABA83E
	v_add_u32_e32 v214, s62, v213                              // 000000002FF8: 69ADAA3E
	s_mul_i32 s62, s47, 0x380                                  // 000000002FFC: 923EFF2F 00000380
	s_mul_hi_u32 s63, s40, s62                                 // 000000003004: 963F3E28
	s_add_u32 s25, s25, s63                                    // 000000003008: 80193F19
	s_mul_i32 s63, s40, s62                                    // 00000000300C: 923F3E28
	s_add_u32 s24, s24, s63                                    // 000000003010: 80183F18
	s_addc_u32 s25, s25, 0                                     // 000000003014: 82198019
	s_sub_i32 s63, s44, s62                                    // 000000003018: 81BF3E2C
	s_cmp_lt_u32 s63, 0x380                                    // 00000000301C: BF0AFF3F 00000380
	s_cselect_b32 s62, s63, 0x380                              // 000000003024: 853EFF3F 00000380
	s_mul_i32 s26, s40, s62                                    // 00000000302C: 921A3E28
	s_mov_b32 s27, 0x20000                                     // 000000003030: BE9B00FF 00020000
	v_lshlrev_b32_e32 v215, 2, v0                              // 000000003038: 25AE0082
	s_mul_i32 s63, s46, 0xe0                                   // 00000000303C: 923FFF2E 000000E0
	s_mul_i32 s63, s63, s40                                    // 000000003044: 923F283F
	v_add_u32_e32 v215, s63, v215                              // 000000003048: 69AFAE3F
	s_mul_i32 s62, 32, s40                                     // 00000000304C: 923E28A0
	v_add_u32_e32 v216, s62, v215                              // 000000003050: 69B1AE3E
	v_add_u32_e32 v217, s62, v216                              // 000000003054: 69B3B03E
	v_add_u32_e32 v218, s62, v217                              // 000000003058: 69B5B23E
	v_add_u32_e32 v219, s62, v218                              // 00000000305C: 69B7B43E
	v_add_u32_e32 v220, s62, v219                              // 000000003060: 69B9B63E
	v_add_u32_e32 v221, s62, v220                              // 000000003064: 69BBB83E
	s_mov_b32 s66, 0x80                                        // 000000003068: BEC200FF 00000080
	s_mov_b32 s67, 0x800                                       // 000000003070: BEC300FF 00000800
	s_mov_b32 s68, 0x100                                       // 000000003078: BEC400FF 00000100
	s_mov_b32 s69, 0x100                                       // 000000003080: BEC500FF 00000100
	s_mov_b32 s60, 0                                           // 000000003088: BEBC0080
	s_mov_b32 s61, s45                                         // 00000000308C: BEBD002D
	s_add_u32 m0, 0, s65                                       // 000000003090: 807C4180
	buffer_load_dword v199, s[20:23], 0 offen lds              // 000000003094: E0511000 800500C7
	v_accvgpr_write_b32 a0, 0                                  // 00000000309C: D3D94000 18000080
	v_accvgpr_write_b32 a1, 0                                  // 0000000030A4: D3D94001 18000080
	v_accvgpr_write_b32 a2, 0                                  // 0000000030AC: D3D94002 18000080
	v_accvgpr_write_b32 a3, 0                                  // 0000000030B4: D3D94003 18000080
	v_accvgpr_write_b32 a4, 0                                  // 0000000030BC: D3D94004 18000080
	v_accvgpr_write_b32 a5, 0                                  // 0000000030C4: D3D94005 18000080
	s_add_u32 m0, 0, s64                                       // 0000000030CC: 807C4080
	buffer_load_dwordx4 v195, s[12:15], 0 offen lds            // 0000000030D0: E05D1000 800300C3
	v_accvgpr_write_b32 a6, 0                                  // 0000000030D8: D3D94006 18000080
	v_accvgpr_write_b32 a7, 0                                  // 0000000030E0: D3D94007 18000080
	v_accvgpr_write_b32 a8, 0                                  // 0000000030E8: D3D94008 18000080
	v_accvgpr_write_b32 a9, 0                                  // 0000000030F0: D3D94009 18000080
	v_accvgpr_write_b32 a10, 0                                 // 0000000030F8: D3D9400A 18000080
	v_accvgpr_write_b32 a11, 0                                 // 000000003100: D3D9400B 18000080
	s_add_u32 m0, 0x1080, s64                                  // 000000003108: 807C40FF 00001080
	buffer_load_dwordx4 v196, s[12:15], 0 offen lds            // 000000003110: E05D1000 800300C4
	v_accvgpr_write_b32 a12, 0                                 // 000000003118: D3D9400C 18000080
	v_accvgpr_write_b32 a13, 0                                 // 000000003120: D3D9400D 18000080
	v_accvgpr_write_b32 a14, 0                                 // 000000003128: D3D9400E 18000080
	v_accvgpr_write_b32 a15, 0                                 // 000000003130: D3D9400F 18000080
	v_accvgpr_write_b32 a16, 0                                 // 000000003138: D3D94010 18000080
	v_accvgpr_write_b32 a17, 0                                 // 000000003140: D3D94011 18000080
	buffer_load_dwordx4 v[72:75], v201, s[16:19], 0 offen      // 000000003148: E05C1000 800448C9
	v_accvgpr_write_b32 a18, 0                                 // 000000003150: D3D94012 18000080
	v_accvgpr_write_b32 a19, 0                                 // 000000003158: D3D94013 18000080
	v_accvgpr_write_b32 a20, 0                                 // 000000003160: D3D94014 18000080
	v_accvgpr_write_b32 a21, 0                                 // 000000003168: D3D94015 18000080
	v_accvgpr_write_b32 a22, 0                                 // 000000003170: D3D94016 18000080
	v_accvgpr_write_b32 a23, 0                                 // 000000003178: D3D94017 18000080
	buffer_load_dwordx4 v[76:79], v202, s[16:19], 0 offen      // 000000003180: E05C1000 80044CCA
	v_accvgpr_write_b32 a24, 0                                 // 000000003188: D3D94018 18000080
	v_accvgpr_write_b32 a25, 0                                 // 000000003190: D3D94019 18000080
	v_accvgpr_write_b32 a26, 0                                 // 000000003198: D3D9401A 18000080
	v_accvgpr_write_b32 a27, 0                                 // 0000000031A0: D3D9401B 18000080
	v_accvgpr_write_b32 a28, 0                                 // 0000000031A8: D3D9401C 18000080
	v_accvgpr_write_b32 a29, 0                                 // 0000000031B0: D3D9401D 18000080
	buffer_load_dwordx4 v[80:83], v201, s[16:19], 0 offen offset:1024// 0000000031B8: E05C1400 800450C9
	v_accvgpr_write_b32 a30, 0                                 // 0000000031C0: D3D9401E 18000080
	v_accvgpr_write_b32 a31, 0                                 // 0000000031C8: D3D9401F 18000080
	v_accvgpr_write_b32 a32, 0                                 // 0000000031D0: D3D94020 18000080
	v_accvgpr_write_b32 a33, 0                                 // 0000000031D8: D3D94021 18000080
	v_accvgpr_write_b32 a34, 0                                 // 0000000031E0: D3D94022 18000080
	v_accvgpr_write_b32 a35, 0                                 // 0000000031E8: D3D94023 18000080
	buffer_load_dwordx4 v[84:87], v202, s[16:19], 0 offen offset:1024// 0000000031F0: E05C1400 800454CA
	v_accvgpr_write_b32 a36, 0                                 // 0000000031F8: D3D94024 18000080
	v_accvgpr_write_b32 a37, 0                                 // 000000003200: D3D94025 18000080
	v_accvgpr_write_b32 a38, 0                                 // 000000003208: D3D94026 18000080
	v_accvgpr_write_b32 a39, 0                                 // 000000003210: D3D94027 18000080
	v_accvgpr_write_b32 a40, 0                                 // 000000003218: D3D94028 18000080
	v_accvgpr_write_b32 a41, 0                                 // 000000003220: D3D94029 18000080
	buffer_load_dword v188, v215, s[24:27], 0 offen            // 000000003228: E0501000 8006BCD7
	v_accvgpr_write_b32 a42, 0                                 // 000000003230: D3D9402A 18000080
	v_accvgpr_write_b32 a43, 0                                 // 000000003238: D3D9402B 18000080
	v_accvgpr_write_b32 a44, 0                                 // 000000003240: D3D9402C 18000080
	v_accvgpr_write_b32 a45, 0                                 // 000000003248: D3D9402D 18000080
	v_accvgpr_write_b32 a46, 0                                 // 000000003250: D3D9402E 18000080
	v_accvgpr_write_b32 a47, 0                                 // 000000003258: D3D9402F 18000080
	s_add_u32 s62, 0x100, s60                                  // 000000003260: 803E3CFF 00000100
	s_cmp_lt_u32 s62, s61                                      // 000000003268: BF0A3D3E
	s_cselect_b32 s66, s66, 0                                  // 00000000326C: 85428042
	s_cselect_b32 s68, s68, 0                                  // 000000003270: 85448044
	s_add_u32 s12, s12, s66                                    // 000000003274: 800C420C
	s_addc_u32 s13, 0, s13                                     // 000000003278: 820D0D80
	s_sub_u32 s14, s14, s66                                    // 00000000327C: 808E420E
	s_add_u32 s20, s20, s68                                    // 000000003280: 80144414
	s_addc_u32 s21, 0, s21                                     // 000000003284: 82151580
	s_sub_u32 s22, s22, s68                                    // 000000003288: 80964416
	buffer_load_dwordx4 v[88:91], v203, s[16:19], 0 offen      // 00000000328C: E05C1000 800458CB
	v_accvgpr_write_b32 a48, 0                                 // 000000003294: D3D94030 18000080
	v_accvgpr_write_b32 a49, 0                                 // 00000000329C: D3D94031 18000080
	v_accvgpr_write_b32 a50, 0                                 // 0000000032A4: D3D94032 18000080
	v_accvgpr_write_b32 a51, 0                                 // 0000000032AC: D3D94033 18000080
	v_accvgpr_write_b32 a52, 0                                 // 0000000032B4: D3D94034 18000080
	v_accvgpr_write_b32 a53, 0                                 // 0000000032BC: D3D94035 18000080
	buffer_load_dwordx4 v[92:95], v204, s[16:19], 0 offen      // 0000000032C4: E05C1000 80045CCC
	v_accvgpr_write_b32 a54, 0                                 // 0000000032CC: D3D94036 18000080
	v_accvgpr_write_b32 a55, 0                                 // 0000000032D4: D3D94037 18000080
	v_accvgpr_write_b32 a56, 0                                 // 0000000032DC: D3D94038 18000080
	v_accvgpr_write_b32 a57, 0                                 // 0000000032E4: D3D94039 18000080
	v_accvgpr_write_b32 a58, 0                                 // 0000000032EC: D3D9403A 18000080
	v_accvgpr_write_b32 a59, 0                                 // 0000000032F4: D3D9403B 18000080
	buffer_load_dwordx4 v[96:99], v203, s[16:19], 0 offen offset:1024// 0000000032FC: E05C1400 800460CB
	v_accvgpr_write_b32 a60, 0                                 // 000000003304: D3D9403C 18000080
	v_accvgpr_write_b32 a61, 0                                 // 00000000330C: D3D9403D 18000080
	v_accvgpr_write_b32 a62, 0                                 // 000000003314: D3D9403E 18000080
	v_accvgpr_write_b32 a63, 0                                 // 00000000331C: D3D9403F 18000080
	v_accvgpr_write_b32 a64, 0                                 // 000000003324: D3D94040 18000080
	v_accvgpr_write_b32 a65, 0                                 // 00000000332C: D3D94041 18000080
	buffer_load_dwordx4 v[100:103], v204, s[16:19], 0 offen offset:1024// 000000003334: E05C1400 800464CC
	v_accvgpr_write_b32 a66, 0                                 // 00000000333C: D3D94042 18000080
	v_accvgpr_write_b32 a67, 0                                 // 000000003344: D3D94043 18000080
	v_accvgpr_write_b32 a68, 0                                 // 00000000334C: D3D94044 18000080
	v_accvgpr_write_b32 a69, 0                                 // 000000003354: D3D94045 18000080
	v_accvgpr_write_b32 a70, 0                                 // 00000000335C: D3D94046 18000080
	v_accvgpr_write_b32 a71, 0                                 // 000000003364: D3D94047 18000080
	buffer_load_dword v189, v216, s[24:27], 0 offen            // 00000000336C: E0501000 8006BDD8
	v_accvgpr_write_b32 a72, 0                                 // 000000003374: D3D94048 18000080
	v_accvgpr_write_b32 a73, 0                                 // 00000000337C: D3D94049 18000080
	v_accvgpr_write_b32 a74, 0                                 // 000000003384: D3D9404A 18000080
	v_accvgpr_write_b32 a75, 0                                 // 00000000338C: D3D9404B 18000080
	v_accvgpr_write_b32 a76, 0                                 // 000000003394: D3D9404C 18000080
	v_accvgpr_write_b32 a77, 0                                 // 00000000339C: D3D9404D 18000080
	buffer_load_dwordx4 v[104:107], v205, s[16:19], 0 offen    // 0000000033A4: E05C1000 800468CD
	v_accvgpr_write_b32 a78, 0                                 // 0000000033AC: D3D9404E 18000080
	v_accvgpr_write_b32 a79, 0                                 // 0000000033B4: D3D9404F 18000080
	v_accvgpr_write_b32 a80, 0                                 // 0000000033BC: D3D94050 18000080
	v_accvgpr_write_b32 a81, 0                                 // 0000000033C4: D3D94051 18000080
	v_accvgpr_write_b32 a82, 0                                 // 0000000033CC: D3D94052 18000080
	v_accvgpr_write_b32 a83, 0                                 // 0000000033D4: D3D94053 18000080
	buffer_load_dwordx4 v[108:111], v206, s[16:19], 0 offen    // 0000000033DC: E05C1000 80046CCE
	v_accvgpr_write_b32 a84, 0                                 // 0000000033E4: D3D94054 18000080
	v_accvgpr_write_b32 a85, 0                                 // 0000000033EC: D3D94055 18000080
	v_accvgpr_write_b32 a86, 0                                 // 0000000033F4: D3D94056 18000080
	v_accvgpr_write_b32 a87, 0                                 // 0000000033FC: D3D94057 18000080
	v_accvgpr_write_b32 a88, 0                                 // 000000003404: D3D94058 18000080
	v_accvgpr_write_b32 a89, 0                                 // 00000000340C: D3D94059 18000080
	buffer_load_dwordx4 v[112:115], v205, s[16:19], 0 offen offset:1024// 000000003414: E05C1400 800470CD
	v_accvgpr_write_b32 a90, 0                                 // 00000000341C: D3D9405A 18000080
	v_accvgpr_write_b32 a91, 0                                 // 000000003424: D3D9405B 18000080
	v_accvgpr_write_b32 a92, 0                                 // 00000000342C: D3D9405C 18000080
	v_accvgpr_write_b32 a93, 0                                 // 000000003434: D3D9405D 18000080
	v_accvgpr_write_b32 a94, 0                                 // 00000000343C: D3D9405E 18000080
	v_accvgpr_write_b32 a95, 0                                 // 000000003444: D3D9405F 18000080
	buffer_load_dwordx4 v[116:119], v206, s[16:19], 0 offen offset:1024// 00000000344C: E05C1400 800474CE
	v_accvgpr_write_b32 a96, 0                                 // 000000003454: D3D94060 18000080
	v_accvgpr_write_b32 a97, 0                                 // 00000000345C: D3D94061 18000080
	v_accvgpr_write_b32 a98, 0                                 // 000000003464: D3D94062 18000080
	v_accvgpr_write_b32 a99, 0                                 // 00000000346C: D3D94063 18000080
	v_accvgpr_write_b32 a100, 0                                // 000000003474: D3D94064 18000080
	v_accvgpr_write_b32 a101, 0                                // 00000000347C: D3D94065 18000080
	buffer_load_dword v190, v217, s[24:27], 0 offen            // 000000003484: E0501000 8006BED9
	v_accvgpr_write_b32 a102, 0                                // 00000000348C: D3D94066 18000080
	v_accvgpr_write_b32 a103, 0                                // 000000003494: D3D94067 18000080
	v_accvgpr_write_b32 a104, 0                                // 00000000349C: D3D94068 18000080
	v_accvgpr_write_b32 a105, 0                                // 0000000034A4: D3D94069 18000080
	v_accvgpr_write_b32 a106, 0                                // 0000000034AC: D3D9406A 18000080
	v_accvgpr_write_b32 a107, 0                                // 0000000034B4: D3D9406B 18000080
	v_accvgpr_write_b32 a108, 0                                // 0000000034BC: D3D9406C 18000080
	v_accvgpr_write_b32 a109, 0                                // 0000000034C4: D3D9406D 18000080
	v_accvgpr_write_b32 a110, 0                                // 0000000034CC: D3D9406E 18000080
	v_accvgpr_write_b32 a111, 0                                // 0000000034D4: D3D9406F 18000080
	v_accvgpr_write_b32 a112, 0                                // 0000000034DC: D3D94070 18000080
	v_accvgpr_write_b32 a113, 0                                // 0000000034E4: D3D94071 18000080
	v_accvgpr_write_b32 a114, 0                                // 0000000034EC: D3D94072 18000080
	v_accvgpr_write_b32 a115, 0                                // 0000000034F4: D3D94073 18000080
	v_accvgpr_write_b32 a116, 0                                // 0000000034FC: D3D94074 18000080
	v_accvgpr_write_b32 a117, 0                                // 000000003504: D3D94075 18000080
	v_accvgpr_write_b32 a118, 0                                // 00000000350C: D3D94076 18000080
	v_accvgpr_write_b32 a119, 0                                // 000000003514: D3D94077 18000080
	v_accvgpr_write_b32 a120, 0                                // 00000000351C: D3D94078 18000080
	v_accvgpr_write_b32 a121, 0                                // 000000003524: D3D94079 18000080
	v_accvgpr_write_b32 a122, 0                                // 00000000352C: D3D9407A 18000080
	v_accvgpr_write_b32 a123, 0                                // 000000003534: D3D9407B 18000080
	v_accvgpr_write_b32 a124, 0                                // 00000000353C: D3D9407C 18000080
	v_accvgpr_write_b32 a125, 0                                // 000000003544: D3D9407D 18000080
	v_accvgpr_write_b32 a126, 0                                // 00000000354C: D3D9407E 18000080
	v_accvgpr_write_b32 a127, 0                                // 000000003554: D3D9407F 18000080
	v_accvgpr_write_b32 a128, 0                                // 00000000355C: D3D94080 18000080
	v_accvgpr_write_b32 a129, 0                                // 000000003564: D3D94081 18000080
	v_accvgpr_write_b32 a130, 0                                // 00000000356C: D3D94082 18000080
	v_accvgpr_write_b32 a131, 0                                // 000000003574: D3D94083 18000080
	v_accvgpr_write_b32 a132, 0                                // 00000000357C: D3D94084 18000080
	v_accvgpr_write_b32 a133, 0                                // 000000003584: D3D94085 18000080
	v_accvgpr_write_b32 a134, 0                                // 00000000358C: D3D94086 18000080
	v_accvgpr_write_b32 a135, 0                                // 000000003594: D3D94087 18000080
	v_accvgpr_write_b32 a136, 0                                // 00000000359C: D3D94088 18000080
	v_accvgpr_write_b32 a137, 0                                // 0000000035A4: D3D94089 18000080
	v_accvgpr_write_b32 a138, 0                                // 0000000035AC: D3D9408A 18000080
	v_accvgpr_write_b32 a139, 0                                // 0000000035B4: D3D9408B 18000080
	v_accvgpr_write_b32 a140, 0                                // 0000000035BC: D3D9408C 18000080
	v_accvgpr_write_b32 a141, 0                                // 0000000035C4: D3D9408D 18000080
	v_accvgpr_write_b32 a142, 0                                // 0000000035CC: D3D9408E 18000080
	v_accvgpr_write_b32 a143, 0                                // 0000000035D4: D3D9408F 18000080
	v_accvgpr_write_b32 a144, 0                                // 0000000035DC: D3D94090 18000080
	v_accvgpr_write_b32 a145, 0                                // 0000000035E4: D3D94091 18000080
	v_accvgpr_write_b32 a146, 0                                // 0000000035EC: D3D94092 18000080
	v_accvgpr_write_b32 a147, 0                                // 0000000035F4: D3D94093 18000080
	v_accvgpr_write_b32 a148, 0                                // 0000000035FC: D3D94094 18000080
	v_accvgpr_write_b32 a149, 0                                // 000000003604: D3D94095 18000080
	v_accvgpr_write_b32 a150, 0                                // 00000000360C: D3D94096 18000080
	v_accvgpr_write_b32 a151, 0                                // 000000003614: D3D94097 18000080
	v_accvgpr_write_b32 a152, 0                                // 00000000361C: D3D94098 18000080
	v_accvgpr_write_b32 a153, 0                                // 000000003624: D3D94099 18000080
	v_accvgpr_write_b32 a154, 0                                // 00000000362C: D3D9409A 18000080
	v_accvgpr_write_b32 a155, 0                                // 000000003634: D3D9409B 18000080
	v_accvgpr_write_b32 a156, 0                                // 00000000363C: D3D9409C 18000080
	v_accvgpr_write_b32 a157, 0                                // 000000003644: D3D9409D 18000080
	v_accvgpr_write_b32 a158, 0                                // 00000000364C: D3D9409E 18000080
	v_accvgpr_write_b32 a159, 0                                // 000000003654: D3D9409F 18000080
	v_accvgpr_write_b32 a160, 0                                // 00000000365C: D3D940A0 18000080
	v_accvgpr_write_b32 a161, 0                                // 000000003664: D3D940A1 18000080
	v_accvgpr_write_b32 a162, 0                                // 00000000366C: D3D940A2 18000080
	v_accvgpr_write_b32 a163, 0                                // 000000003674: D3D940A3 18000080
	v_accvgpr_write_b32 a164, 0                                // 00000000367C: D3D940A4 18000080
	v_accvgpr_write_b32 a165, 0                                // 000000003684: D3D940A5 18000080
	v_accvgpr_write_b32 a166, 0                                // 00000000368C: D3D940A6 18000080
	v_accvgpr_write_b32 a167, 0                                // 000000003694: D3D940A7 18000080
	v_accvgpr_write_b32 a168, 0                                // 00000000369C: D3D940A8 18000080
	v_accvgpr_write_b32 a169, 0                                // 0000000036A4: D3D940A9 18000080
	v_accvgpr_write_b32 a170, 0                                // 0000000036AC: D3D940AA 18000080
	v_accvgpr_write_b32 a171, 0                                // 0000000036B4: D3D940AB 18000080
	v_accvgpr_write_b32 a172, 0                                // 0000000036BC: D3D940AC 18000080
	v_accvgpr_write_b32 a173, 0                                // 0000000036C4: D3D940AD 18000080
	v_accvgpr_write_b32 a174, 0                                // 0000000036CC: D3D940AE 18000080
	v_accvgpr_write_b32 a175, 0                                // 0000000036D4: D3D940AF 18000080
	v_accvgpr_write_b32 a176, 0                                // 0000000036DC: D3D940B0 18000080
	v_accvgpr_write_b32 a177, 0                                // 0000000036E4: D3D940B1 18000080
	v_accvgpr_write_b32 a178, 0                                // 0000000036EC: D3D940B2 18000080
	v_accvgpr_write_b32 a179, 0                                // 0000000036F4: D3D940B3 18000080
	v_accvgpr_write_b32 a180, 0                                // 0000000036FC: D3D940B4 18000080
	v_accvgpr_write_b32 a181, 0                                // 000000003704: D3D940B5 18000080
	v_accvgpr_write_b32 a182, 0                                // 00000000370C: D3D940B6 18000080
	v_accvgpr_write_b32 a183, 0                                // 000000003714: D3D940B7 18000080
	v_accvgpr_write_b32 a184, 0                                // 00000000371C: D3D940B8 18000080
	v_accvgpr_write_b32 a185, 0                                // 000000003724: D3D940B9 18000080
	v_accvgpr_write_b32 a186, 0                                // 00000000372C: D3D940BA 18000080
	v_accvgpr_write_b32 a187, 0                                // 000000003734: D3D940BB 18000080
	v_accvgpr_write_b32 a188, 0                                // 00000000373C: D3D940BC 18000080
	v_accvgpr_write_b32 a189, 0                                // 000000003744: D3D940BD 18000080
	v_accvgpr_write_b32 a190, 0                                // 00000000374C: D3D940BE 18000080
	v_accvgpr_write_b32 a191, 0                                // 000000003754: D3D940BF 18000080
	v_accvgpr_write_b32 a192, 0                                // 00000000375C: D3D940C0 18000080
	v_accvgpr_write_b32 a193, 0                                // 000000003764: D3D940C1 18000080
	v_accvgpr_write_b32 a194, 0                                // 00000000376C: D3D940C2 18000080
	v_accvgpr_write_b32 a195, 0                                // 000000003774: D3D940C3 18000080
	v_accvgpr_write_b32 a196, 0                                // 00000000377C: D3D940C4 18000080
	v_accvgpr_write_b32 a197, 0                                // 000000003784: D3D940C5 18000080
	v_accvgpr_write_b32 a198, 0                                // 00000000378C: D3D940C6 18000080
	v_accvgpr_write_b32 a199, 0                                // 000000003794: D3D940C7 18000080
	v_accvgpr_write_b32 a200, 0                                // 00000000379C: D3D940C8 18000080
	v_accvgpr_write_b32 a201, 0                                // 0000000037A4: D3D940C9 18000080
	v_accvgpr_write_b32 a202, 0                                // 0000000037AC: D3D940CA 18000080
	v_accvgpr_write_b32 a203, 0                                // 0000000037B4: D3D940CB 18000080
	v_accvgpr_write_b32 a204, 0                                // 0000000037BC: D3D940CC 18000080
	v_accvgpr_write_b32 a205, 0                                // 0000000037C4: D3D940CD 18000080
	v_accvgpr_write_b32 a206, 0                                // 0000000037CC: D3D940CE 18000080
	v_accvgpr_write_b32 a207, 0                                // 0000000037D4: D3D940CF 18000080
	v_accvgpr_write_b32 a208, 0                                // 0000000037DC: D3D940D0 18000080
	v_accvgpr_write_b32 a209, 0                                // 0000000037E4: D3D940D1 18000080
	v_accvgpr_write_b32 a210, 0                                // 0000000037EC: D3D940D2 18000080
	v_accvgpr_write_b32 a211, 0                                // 0000000037F4: D3D940D3 18000080
	v_accvgpr_write_b32 a212, 0                                // 0000000037FC: D3D940D4 18000080
	v_accvgpr_write_b32 a213, 0                                // 000000003804: D3D940D5 18000080
	v_accvgpr_write_b32 a214, 0                                // 00000000380C: D3D940D6 18000080
	v_accvgpr_write_b32 a215, 0                                // 000000003814: D3D940D7 18000080
	v_accvgpr_write_b32 a216, 0                                // 00000000381C: D3D940D8 18000080
	v_accvgpr_write_b32 a217, 0                                // 000000003824: D3D940D9 18000080
	v_accvgpr_write_b32 a218, 0                                // 00000000382C: D3D940DA 18000080
	v_accvgpr_write_b32 a219, 0                                // 000000003834: D3D940DB 18000080
	v_accvgpr_write_b32 a220, 0                                // 00000000383C: D3D940DC 18000080
	v_accvgpr_write_b32 a221, 0                                // 000000003844: D3D940DD 18000080
	v_accvgpr_write_b32 a222, 0                                // 00000000384C: D3D940DE 18000080
	v_accvgpr_write_b32 a223, 0                                // 000000003854: D3D940DF 18000080
	s_waitcnt vmcnt(15)                                        // 00000000385C: BF8C0F7F
	s_barrier                                                  // 000000003860: BF8A0000
	ds_read_b128 v[8:11], v197                                 // 000000003864: D9FE0000 080000C5
	ds_read_b128 v[16:19], v197 offset:64                      // 00000000386C: D9FE0040 100000C5
	ds_read_b128 v[12:15], v197 offset:512                     // 000000003874: D9FE0200 0C0000C5
	ds_read_b128 v[20:23], v197 offset:576                     // 00000000387C: D9FE0240 140000C5
	ds_read_b32 v184, v200                                     // 000000003884: D86C0000 B80000C8
	ds_read_b128 v[24:27], v197 offset:4224                    // 00000000388C: D9FE1080 180000C5
	ds_read_b128 v[32:35], v197 offset:4288                    // 000000003894: D9FE10C0 200000C5
	ds_read_b128 v[28:31], v197 offset:4736                    // 00000000389C: D9FE1280 1C0000C5
	ds_read_b128 v[36:39], v197 offset:4800                    // 0000000038A4: D9FE12C0 240000C5
	ds_read_b32 v185, v200 offset:256                          // 0000000038AC: D86C0100 B90000C8
	s_nop 0                                                    // 0000000038B4: BF800000
	s_nop 0                                                    // 0000000038B8: BF800000
	s_nop 0                                                    // 0000000038BC: BF800000
	s_nop 0                                                    // 0000000038C0: BF800000
	s_nop 0                                                    // 0000000038C4: BF800000
	s_lshl_b32 s36, s36, 1                                     // 0000000038C8: 8E248124
	s_mul_i32 s62, s48, 64                                     // 0000000038CC: 923EC030
	s_mul_hi_u32 s63, s36, s62                                 // 0000000038D0: 963F3E24
	s_add_u32 s5, s5, s63                                      // 0000000038D4: 80053F05
	s_mul_i32 s63, s36, s62                                    // 0000000038D8: 923F3E24
	s_add_u32 s4, s4, s63                                      // 0000000038DC: 80043F04
	s_addc_u32 s5, s5, 0                                       // 0000000038E0: 82058005
	s_mul_i32 s63, s47, 0x380                                  // 0000000038E4: 923FFF2F 00000380
	s_lshl_b32 s63, s63, 1                                     // 0000000038EC: 8E3F813F
	s_add_u32 s4, s4, s63                                      // 0000000038F0: 80043F04
	s_addc_u32 s5, s5, 0                                       // 0000000038F4: 82058005
	s_sub_i32 s62, s43, s62                                    // 0000000038F8: 81BE3E2B
	s_cmp_lt_u32 s62, 64                                       // 0000000038FC: BF0AC03E
	s_cselect_b32 s62, s62, 64                                 // 000000003900: 853EC03E
	s_mul_i32 s62, s36, s62                                    // 000000003904: 923E3E24
	s_sub_i32 s6, s62, s63                                     // 000000003908: 81863F3E
	s_mov_b32 s7, 0x20000                                      // 00000000390C: BE8700FF 00020000
	s_mul_i32 s62, s46, 0xe0                                   // 000000003914: 923EFF2E 000000E0
	s_lshl_b32 s62, s62, 1                                     // 00000000391C: 8E3E813E
	v_lshrrev_b32_e32 v4, 5, v0                                // 000000003920: 20080085
	v_mul_i32_i24_e32 v4, 16, v4                               // 000000003924: 0C080890
	v_lshrrev_b32_e32 v5, 4, v0                                // 000000003928: 200A0084
	v_and_b32_e32 v5, 1, v5                                    // 00000000392C: 260A0A81
	v_mul_i32_i24_e32 v5, 32, v5                               // 000000003930: 0C0A0AA0
	v_add_u32_e32 v4, v4, v5                                   // 000000003934: 68080B04
	v_and_b32_e32 v5, 15, v0                                   // 000000003938: 260A008F
	v_mul_lo_u32 v222, s36, v5                                 // 00000000393C: D28500DE 00020A24
	v_add_u32_e32 v222, s62, v222                              // 000000003944: 69BDBC3E
	v_add_u32_e32 v222, v4, v222                               // 000000003948: 69BDBD04
	s_cmp_lt_i32 s46, 2                                        // 00000000394C: BF04822E
	s_cbranch_scc0 label_07E4                                  // 000000003950: BF84048F

0000000000003954 <label_0355>:
	s_waitcnt vmcnt(10) lgkmcnt(5)                             // 000000003954: BF8C057A
	v_mfma_scale_f32_16x16x128_f8f6f4 a[0:3], v[72:75], v[8:11], a[0:3], v188, v184 op_sel_hi:[0,0,0] cbsz:4 blgp:4// 000000003958: D3AC6000 000371BC D3AD8C00 84021148
	v_mfma_scale_f32_16x16x128_f8f6f4 a[4:7], v[72:75], v[12:15], a[4:7], v188, v184 op_sel_hi:[0,0,0] cbsz:4 blgp:4// 000000003968: D3AC7000 000371BC D3AD8C04 84121948
	buffer_load_dwordx4 v[120:123], v207, s[16:19], 0 offen    // 000000003978: E05C1000 800478CF
	v_mfma_scale_f32_16x16x128_f8f6f4 a[8:11], v[76:79], v[8:11], a[8:11], v188, v184 op_sel_hi:[0,0,0] cbsz:4 blgp:4// 000000003980: D3AC6800 000371BC D3AD8C08 8422114C
	v_mfma_scale_f32_16x16x128_f8f6f4 a[12:15], v[76:79], v[12:15], a[12:15], v188, v184 op_sel_hi:[0,0,0] cbsz:4 blgp:4// 000000003990: D3AC7800 000371BC D3AD8C0C 8432194C
	buffer_load_dwordx4 v[124:127], v208, s[16:19], 0 offen    // 0000000039A0: E05C1000 80047CD0
	v_mfma_scale_f32_16x16x128_f8f6f4 a[0:3], v[80:83], v[16:19], a[0:3], v188, v184 op_sel_hi:[0,0,0] cbsz:4 blgp:4// 0000000039A8: D3AC6000 180371BC D3AD8C00 84022150
	v_mfma_scale_f32_16x16x128_f8f6f4 a[4:7], v[80:83], v[20:23], a[4:7], v188, v184 op_sel_hi:[0,0,0] cbsz:4 blgp:4// 0000000039B8: D3AC7000 180371BC D3AD8C04 84122950
	buffer_load_dwordx4 v[128:131], v207, s[16:19], 0 offen offset:1024// 0000000039C8: E05C1400 800480CF
	v_mfma_scale_f32_16x16x128_f8f6f4 a[8:11], v[84:87], v[16:19], a[8:11], v188, v184 op_sel_hi:[0,0,0] cbsz:4 blgp:4// 0000000039D0: D3AC6800 180371BC D3AD8C08 84222154
	v_mfma_scale_f32_16x16x128_f8f6f4 a[12:15], v[84:87], v[20:23], a[12:15], v188, v184 op_sel_hi:[0,0,0] cbsz:4 blgp:4// 0000000039E0: D3AC7800 180371BC D3AD8C0C 84322954
	buffer_load_dwordx4 v[132:135], v208, s[16:19], 0 offen offset:1024// 0000000039F0: E05C1400 800484D0
	s_waitcnt lgkmcnt(0)                                       // 0000000039F8: BF8CC07F
	v_mfma_scale_f32_16x16x128_f8f6f4 a[112:115], v[72:75], v[24:27], a[112:115], v188, v185 op_sel_hi:[0,0,0] cbsz:4 blgp:4// 0000000039FC: D3AC6000 000373BC D3AD8C70 85C23148
	v_mfma_scale_f32_16x16x128_f8f6f4 a[116:119], v[72:75], v[28:31], a[116:119], v188, v185 op_sel_hi:[0,0,0] cbsz:4 blgp:4// 000000003A0C: D3AC7000 000373BC D3AD8C74 85D23948
	buffer_load_dword v191, v218, s[24:27], 0 offen            // 000000003A1C: E0501000 8006BFDA
	v_mfma_scale_f32_16x16x128_f8f6f4 a[120:123], v[76:79], v[24:27], a[120:123], v188, v185 op_sel_hi:[0,0,0] cbsz:4 blgp:4// 000000003A24: D3AC6800 000373BC D3AD8C78 85E2314C
	v_mfma_scale_f32_16x16x128_f8f6f4 a[124:127], v[76:79], v[28:31], a[124:127], v188, v185 op_sel_hi:[0,0,0] cbsz:4 blgp:4// 000000003A34: D3AC7800 000373BC D3AD8C7C 85F2394C
	v_mfma_scale_f32_16x16x128_f8f6f4 a[112:115], v[80:83], v[32:35], a[112:115], v188, v185 op_sel_hi:[0,0,0] cbsz:4 blgp:4// 000000003A44: D3AC6000 180373BC D3AD8C70 85C24150
	v_mfma_scale_f32_16x16x128_f8f6f4 a[116:119], v[80:83], v[36:39], a[116:119], v188, v185 op_sel_hi:[0,0,0] cbsz:4 blgp:4// 000000003A54: D3AC7000 180373BC D3AD8C74 85D24950
	v_mfma_scale_f32_16x16x128_f8f6f4 a[120:123], v[84:87], v[32:35], a[120:123], v188, v185 op_sel_hi:[0,0,0] cbsz:4 blgp:4// 000000003A64: D3AC6800 180373BC D3AD8C78 85E24154
	v_mfma_scale_f32_16x16x128_f8f6f4 a[124:127], v[84:87], v[36:39], a[124:127], v188, v185 op_sel_hi:[0,0,0] cbsz:4 blgp:4// 000000003A74: D3AC7800 180373BC D3AD8C7C 85F24954
	s_waitcnt vmcnt(10)                                        // 000000003A84: BF8C0F7A
	v_mfma_scale_f32_16x16x128_f8f6f4 a[16:19], v[88:91], v[8:11], a[16:19], v189, v184 op_sel_hi:[0,0,0] cbsz:4 blgp:4// 000000003A88: D3AC6000 000371BD D3AD8C10 84421158
	v_mfma_scale_f32_16x16x128_f8f6f4 a[20:23], v[88:91], v[12:15], a[20:23], v189, v184 op_sel_hi:[0,0,0] cbsz:4 blgp:4// 000000003A98: D3AC7000 000371BD D3AD8C14 84521958
	buffer_load_dwordx4 v[136:139], v209, s[16:19], 0 offen    // 000000003AA8: E05C1000 800488D1
	v_mfma_scale_f32_16x16x128_f8f6f4 a[24:27], v[92:95], v[8:11], a[24:27], v189, v184 op_sel_hi:[0,0,0] cbsz:4 blgp:4// 000000003AB0: D3AC6800 000371BD D3AD8C18 8462115C
	v_mfma_scale_f32_16x16x128_f8f6f4 a[28:31], v[92:95], v[12:15], a[28:31], v189, v184 op_sel_hi:[0,0,0] cbsz:4 blgp:4// 000000003AC0: D3AC7800 000371BD D3AD8C1C 8472195C
	buffer_load_dwordx4 v[140:143], v210, s[16:19], 0 offen    // 000000003AD0: E05C1000 80048CD2
	v_mfma_scale_f32_16x16x128_f8f6f4 a[16:19], v[96:99], v[16:19], a[16:19], v189, v184 op_sel_hi:[0,0,0] cbsz:4 blgp:4// 000000003AD8: D3AC6000 180371BD D3AD8C10 84422160
	v_mfma_scale_f32_16x16x128_f8f6f4 a[20:23], v[96:99], v[20:23], a[20:23], v189, v184 op_sel_hi:[0,0,0] cbsz:4 blgp:4// 000000003AE8: D3AC7000 180371BD D3AD8C14 84522960
	buffer_load_dwordx4 v[144:147], v209, s[16:19], 0 offen offset:1024// 000000003AF8: E05C1400 800490D1
	v_mfma_scale_f32_16x16x128_f8f6f4 a[24:27], v[100:103], v[16:19], a[24:27], v189, v184 op_sel_hi:[0,0,0] cbsz:4 blgp:4// 000000003B00: D3AC6800 180371BD D3AD8C18 84622164
	v_mfma_scale_f32_16x16x128_f8f6f4 a[28:31], v[100:103], v[20:23], a[28:31], v189, v184 op_sel_hi:[0,0,0] cbsz:4 blgp:4// 000000003B10: D3AC7800 180371BD D3AD8C1C 84722964
	buffer_load_dwordx4 v[148:151], v210, s[16:19], 0 offen offset:1024// 000000003B20: E05C1400 800494D2
	v_mfma_scale_f32_16x16x128_f8f6f4 a[128:131], v[88:91], v[24:27], a[128:131], v189, v185 op_sel_hi:[0,0,0] cbsz:4 blgp:4// 000000003B28: D3AC6000 000373BD D3AD8C80 86023158
	v_mfma_scale_f32_16x16x128_f8f6f4 a[132:135], v[88:91], v[28:31], a[132:135], v189, v185 op_sel_hi:[0,0,0] cbsz:4 blgp:4// 000000003B38: D3AC7000 000373BD D3AD8C84 86123958
	buffer_load_dword v192, v219, s[24:27], 0 offen            // 000000003B48: E0501000 8006C0DB
	v_mfma_scale_f32_16x16x128_f8f6f4 a[136:139], v[92:95], v[24:27], a[136:139], v189, v185 op_sel_hi:[0,0,0] cbsz:4 blgp:4// 000000003B50: D3AC6800 000373BD D3AD8C88 8622315C
	v_mfma_scale_f32_16x16x128_f8f6f4 a[140:143], v[92:95], v[28:31], a[140:143], v189, v185 op_sel_hi:[0,0,0] cbsz:4 blgp:4// 000000003B60: D3AC7800 000373BD D3AD8C8C 8632395C
	v_mfma_scale_f32_16x16x128_f8f6f4 a[128:131], v[96:99], v[32:35], a[128:131], v189, v185 op_sel_hi:[0,0,0] cbsz:4 blgp:4// 000000003B70: D3AC6000 180373BD D3AD8C80 86024160
	v_mfma_scale_f32_16x16x128_f8f6f4 a[132:135], v[96:99], v[36:39], a[132:135], v189, v185 op_sel_hi:[0,0,0] cbsz:4 blgp:4// 000000003B80: D3AC7000 180373BD D3AD8C84 86124960
	v_mfma_scale_f32_16x16x128_f8f6f4 a[136:139], v[100:103], v[32:35], a[136:139], v189, v185 op_sel_hi:[0,0,0] cbsz:4 blgp:4// 000000003B90: D3AC6800 180373BD D3AD8C88 86224164
	v_mfma_scale_f32_16x16x128_f8f6f4 a[140:143], v[100:103], v[36:39], a[140:143], v189, v185 op_sel_hi:[0,0,0] cbsz:4 blgp:4// 000000003BA0: D3AC7800 180373BD D3AD8C8C 86324964
	s_waitcnt vmcnt(10)                                        // 000000003BB0: BF8C0F7A
	v_mfma_scale_f32_16x16x128_f8f6f4 a[32:35], v[104:107], v[8:11], a[32:35], v190, v184 op_sel_hi:[0,0,0] cbsz:4 blgp:4// 000000003BB4: D3AC6000 000371BE D3AD8C20 84821168
	v_mfma_scale_f32_16x16x128_f8f6f4 a[36:39], v[104:107], v[12:15], a[36:39], v190, v184 op_sel_hi:[0,0,0] cbsz:4 blgp:4// 000000003BC4: D3AC7000 000371BE D3AD8C24 84921968
	buffer_load_dwordx4 v[152:155], v211, s[16:19], 0 offen    // 000000003BD4: E05C1000 800498D3
	v_mfma_scale_f32_16x16x128_f8f6f4 a[40:43], v[108:111], v[8:11], a[40:43], v190, v184 op_sel_hi:[0,0,0] cbsz:4 blgp:4// 000000003BDC: D3AC6800 000371BE D3AD8C28 84A2116C
	v_mfma_scale_f32_16x16x128_f8f6f4 a[44:47], v[108:111], v[12:15], a[44:47], v190, v184 op_sel_hi:[0,0,0] cbsz:4 blgp:4// 000000003BEC: D3AC7800 000371BE D3AD8C2C 84B2196C
	buffer_load_dwordx4 v[156:159], v212, s[16:19], 0 offen    // 000000003BFC: E05C1000 80049CD4
	v_mfma_scale_f32_16x16x128_f8f6f4 a[32:35], v[112:115], v[16:19], a[32:35], v190, v184 op_sel_hi:[0,0,0] cbsz:4 blgp:4// 000000003C04: D3AC6000 180371BE D3AD8C20 84822170
	v_mfma_scale_f32_16x16x128_f8f6f4 a[36:39], v[112:115], v[20:23], a[36:39], v190, v184 op_sel_hi:[0,0,0] cbsz:4 blgp:4// 000000003C14: D3AC7000 180371BE D3AD8C24 84922970
	buffer_load_dwordx4 v[160:163], v211, s[16:19], 0 offen offset:1024// 000000003C24: E05C1400 8004A0D3
	v_mfma_scale_f32_16x16x128_f8f6f4 a[40:43], v[116:119], v[16:19], a[40:43], v190, v184 op_sel_hi:[0,0,0] cbsz:4 blgp:4// 000000003C2C: D3AC6800 180371BE D3AD8C28 84A22174
	v_mfma_scale_f32_16x16x128_f8f6f4 a[44:47], v[116:119], v[20:23], a[44:47], v190, v184 op_sel_hi:[0,0,0] cbsz:4 blgp:4// 000000003C3C: D3AC7800 180371BE D3AD8C2C 84B22974
	buffer_load_dwordx4 v[164:167], v212, s[16:19], 0 offen offset:1024// 000000003C4C: E05C1400 8004A4D4
	v_mfma_scale_f32_16x16x128_f8f6f4 a[144:147], v[104:107], v[24:27], a[144:147], v190, v185 op_sel_hi:[0,0,0] cbsz:4 blgp:4// 000000003C54: D3AC6000 000373BE D3AD8C90 86423168
	v_mfma_scale_f32_16x16x128_f8f6f4 a[148:151], v[104:107], v[28:31], a[148:151], v190, v185 op_sel_hi:[0,0,0] cbsz:4 blgp:4// 000000003C64: D3AC7000 000373BE D3AD8C94 86523968
	buffer_load_dword v193, v220, s[24:27], 0 offen            // 000000003C74: E0501000 8006C1DC
	v_mfma_scale_f32_16x16x128_f8f6f4 a[152:155], v[108:111], v[24:27], a[152:155], v190, v185 op_sel_hi:[0,0,0] cbsz:4 blgp:4// 000000003C7C: D3AC6800 000373BE D3AD8C98 8662316C
	v_mfma_scale_f32_16x16x128_f8f6f4 a[156:159], v[108:111], v[28:31], a[156:159], v190, v185 op_sel_hi:[0,0,0] cbsz:4 blgp:4// 000000003C8C: D3AC7800 000373BE D3AD8C9C 8672396C
	v_mfma_scale_f32_16x16x128_f8f6f4 a[144:147], v[112:115], v[32:35], a[144:147], v190, v185 op_sel_hi:[0,0,0] cbsz:4 blgp:4// 000000003C9C: D3AC6000 180373BE D3AD8C90 86424170
	v_mfma_scale_f32_16x16x128_f8f6f4 a[148:151], v[112:115], v[36:39], a[148:151], v190, v185 op_sel_hi:[0,0,0] cbsz:4 blgp:4// 000000003CAC: D3AC7000 180373BE D3AD8C94 86524970
	v_mfma_scale_f32_16x16x128_f8f6f4 a[152:155], v[116:119], v[32:35], a[152:155], v190, v185 op_sel_hi:[0,0,0] cbsz:4 blgp:4// 000000003CBC: D3AC6800 180373BE D3AD8C98 86624174
	v_mfma_scale_f32_16x16x128_f8f6f4 a[156:159], v[116:119], v[36:39], a[156:159], v190, v185 op_sel_hi:[0,0,0] cbsz:4 blgp:4// 000000003CCC: D3AC7800 180373BE D3AD8C9C 86724974
	s_waitcnt vmcnt(10)                                        // 000000003CDC: BF8C0F7A
	v_mfma_scale_f32_16x16x128_f8f6f4 a[48:51], v[120:123], v[8:11], a[48:51], v191, v184 op_sel_hi:[0,0,0] cbsz:4 blgp:4// 000000003CE0: D3AC6000 000371BF D3AD8C30 84C21178
	s_add_u32 s63, 0x100, s60                                  // 000000003CF0: 803F3CFF 00000100
	s_cmp_lt_u32 s63, s61                                      // 000000003CF8: BF0A3D3F
	v_mfma_scale_f32_16x16x128_f8f6f4 a[52:55], v[120:123], v[12:15], a[52:55], v191, v184 op_sel_hi:[0,0,0] cbsz:4 blgp:4// 000000003CFC: D3AC7000 000371BF D3AD8C34 84D21978
	s_cselect_b32 s67, s67, 0                                  // 000000003D0C: 85438043
	buffer_load_dwordx4 v[168:171], v213, s[16:19], 0 offen    // 000000003D10: E05C1000 8004A8D5
	v_mfma_scale_f32_16x16x128_f8f6f4 a[56:59], v[124:127], v[8:11], a[56:59], v191, v184 op_sel_hi:[0,0,0] cbsz:4 blgp:4// 000000003D18: D3AC6800 000371BF D3AD8C38 84E2117C
	s_cselect_b32 s69, s69, 0                                  // 000000003D28: 85458045
	v_mfma_scale_f32_16x16x128_f8f6f4 a[60:63], v[124:127], v[12:15], a[60:63], v191, v184 op_sel_hi:[0,0,0] cbsz:4 blgp:4// 000000003D2C: D3AC7800 000371BF D3AD8C3C 84F2197C
	buffer_load_dwordx4 v[172:175], v214, s[16:19], 0 offen    // 000000003D3C: E05C1000 8004ACD6
	v_mfma_scale_f32_16x16x128_f8f6f4 a[48:51], v[128:131], v[16:19], a[48:51], v191, v184 op_sel_hi:[0,0,0] cbsz:4 blgp:4// 000000003D44: D3AC6000 180371BF D3AD8C30 84C22180
	v_mfma_scale_f32_16x16x128_f8f6f4 a[52:55], v[128:131], v[20:23], a[52:55], v191, v184 op_sel_hi:[0,0,0] cbsz:4 blgp:4// 000000003D54: D3AC7000 180371BF D3AD8C34 84D22980
	buffer_load_dwordx4 v[176:179], v213, s[16:19], 0 offen offset:1024// 000000003D64: E05C1400 8004B0D5
	v_mfma_scale_f32_16x16x128_f8f6f4 a[56:59], v[132:135], v[16:19], a[56:59], v191, v184 op_sel_hi:[0,0,0] cbsz:4 blgp:4// 000000003D6C: D3AC6800 180371BF D3AD8C38 84E22184
	v_mfma_scale_f32_16x16x128_f8f6f4 a[60:63], v[132:135], v[20:23], a[60:63], v191, v184 op_sel_hi:[0,0,0] cbsz:4 blgp:4// 000000003D7C: D3AC7800 180371BF D3AD8C3C 84F22984
	buffer_load_dwordx4 v[180:183], v214, s[16:19], 0 offen offset:1024// 000000003D8C: E05C1400 8004B4D6
	v_mfma_scale_f32_16x16x128_f8f6f4 a[160:163], v[120:123], v[24:27], a[160:163], v191, v185 op_sel_hi:[0,0,0] cbsz:4 blgp:4// 000000003D94: D3AC6000 000373BF D3AD8CA0 86823178
	v_mfma_scale_f32_16x16x128_f8f6f4 a[164:167], v[120:123], v[28:31], a[164:167], v191, v185 op_sel_hi:[0,0,0] cbsz:4 blgp:4// 000000003DA4: D3AC7000 000373BF D3AD8CA4 86923978
	buffer_load_dword v194, v221, s[24:27], 0 offen            // 000000003DB4: E0501000 8006C2DD
	v_mfma_scale_f32_16x16x128_f8f6f4 a[168:171], v[124:127], v[24:27], a[168:171], v191, v185 op_sel_hi:[0,0,0] cbsz:4 blgp:4// 000000003DBC: D3AC6800 000373BF D3AD8CA8 86A2317C
	s_add_u32 s16, s16, s67                                    // 000000003DCC: 80104310
	s_addc_u32 s17, 0, s17                                     // 000000003DD0: 82111180
	v_mfma_scale_f32_16x16x128_f8f6f4 a[172:175], v[124:127], v[28:31], a[172:175], v191, v185 op_sel_hi:[0,0,0] cbsz:4 blgp:4// 000000003DD4: D3AC5800 000373BF D3AD8CAC 86B2397C
	s_sub_u32 s18, s18, s67                                    // 000000003DE4: 80924312
	s_add_u32 s24, s24, s69                                    // 000000003DE8: 80184518
	v_mfma_scale_f32_16x16x128_f8f6f4 a[160:163], v[128:131], v[32:35], a[160:163], v191, v185 op_sel_hi:[0,0,0] cbsz:4 blgp:4// 000000003DEC: D3AC4000 180373BF D3AD8CA0 86824180
	s_addc_u32 s25, 0, s25                                     // 000000003DFC: 82191980
	s_sub_u32 s26, s26, s69                                    // 000000003E00: 809A451A
	v_mfma_scale_f32_16x16x128_f8f6f4 a[164:167], v[128:131], v[36:39], a[164:167], v191, v185 op_sel_hi:[0,0,0] cbsz:4 blgp:4// 000000003E04: D3AC5000 180373BF D3AD8CA4 86924980
	s_add_u32 m0, 0x400, s65                                   // 000000003E14: 807C41FF 00000400
	buffer_load_dword v199, s[20:23], 0 offen lds              // 000000003E1C: E0511000 800500C7
	v_mfma_scale_f32_16x16x128_f8f6f4 a[168:171], v[132:135], v[32:35], a[168:171], v191, v185 op_sel_hi:[0,0,0] cbsz:4 blgp:4// 000000003E24: D3AC6800 180373BF D3AD8CA8 86A24184
	v_mfma_scale_f32_16x16x128_f8f6f4 a[172:175], v[132:135], v[36:39], a[172:175], v191, v185 op_sel_hi:[0,0,0] cbsz:4 blgp:4// 000000003E34: D3AC5800 180373BF D3AD8CAC 86B24984
	s_waitcnt vmcnt(11)                                        // 000000003E44: BF8C0F7B
	v_mfma_scale_f32_16x16x128_f8f6f4 a[64:67], v[136:139], v[8:11], a[64:67], v192, v184 op_sel_hi:[0,0,0] cbsz:4 blgp:4// 000000003E48: D3AC6000 000371C0 D3AD8C40 85021188
	v_mfma_scale_f32_16x16x128_f8f6f4 a[68:71], v[136:139], v[12:15], a[68:71], v192, v184 op_sel_hi:[0,0,0] cbsz:4 blgp:4// 000000003E58: D3AC5000 000371C0 D3AD8C44 85121988
	s_add_u32 m0, 0x2100, s64                                  // 000000003E68: 807C40FF 00002100
	buffer_load_dwordx4 v195, s[12:15], 0 offen lds            // 000000003E70: E05D1000 800300C3
	v_mfma_scale_f32_16x16x128_f8f6f4 a[72:75], v[140:143], v[8:11], a[72:75], v192, v184 op_sel_hi:[0,0,0] cbsz:4 blgp:4// 000000003E78: D3AC6800 000371C0 D3AD8C48 8522118C
	v_mfma_scale_f32_16x16x128_f8f6f4 a[76:79], v[140:143], v[12:15], a[76:79], v192, v184 op_sel_hi:[0,0,0] cbsz:4 blgp:4// 000000003E88: D3AC5800 000371C0 D3AD8C4C 8532198C
	s_add_u32 m0, 0x3180, s64                                  // 000000003E98: 807C40FF 00003180
	buffer_load_dwordx4 v196, s[12:15], 0 offen lds            // 000000003EA0: E05D1000 800300C4
	v_mfma_scale_f32_16x16x128_f8f6f4 a[64:67], v[144:147], v[16:19], a[64:67], v192, v184 op_sel_hi:[0,0,0] cbsz:4 blgp:4// 000000003EA8: D3AC6000 180371C0 D3AD8C40 85022190
	s_add_u32 s62, 0x200, s60                                  // 000000003EB8: 803E3CFF 00000200
	s_cmp_lt_u32 s62, s61                                      // 000000003EC0: BF0A3D3E
	v_mfma_scale_f32_16x16x128_f8f6f4 a[68:71], v[144:147], v[20:23], a[68:71], v192, v184 op_sel_hi:[0,0,0] cbsz:4 blgp:4// 000000003EC4: D3AC7000 180371C0 D3AD8C44 85122990
	s_cselect_b32 s66, s66, 0                                  // 000000003ED4: 85428042
	buffer_load_dwordx4 v[72:75], v201, s[16:19], 0 offen      // 000000003ED8: E05C1000 800448C9
	v_mfma_scale_f32_16x16x128_f8f6f4 a[72:75], v[148:151], v[16:19], a[72:75], v192, v184 op_sel_hi:[0,0,0] cbsz:4 blgp:4// 000000003EE0: D3AC6800 180371C0 D3AD8C48 85222194
	s_cselect_b32 s68, s68, 0                                  // 000000003EF0: 85448044
	s_add_u32 s12, s12, s66                                    // 000000003EF4: 800C420C
	v_mfma_scale_f32_16x16x128_f8f6f4 a[76:79], v[148:151], v[20:23], a[76:79], v192, v184 op_sel_hi:[0,0,0] cbsz:4 blgp:4// 000000003EF8: D3AC5800 180371C0 D3AD8C4C 85322994
	s_addc_u32 s13, 0, s13                                     // 000000003F08: 820D0D80
	buffer_load_dwordx4 v[76:79], v202, s[16:19], 0 offen      // 000000003F0C: E05C1000 80044CCA
	v_mfma_scale_f32_16x16x128_f8f6f4 a[176:179], v[136:139], v[24:27], a[176:179], v192, v185 op_sel_hi:[0,0,0] cbsz:4 blgp:4// 000000003F14: D3AC6000 000373C0 D3AD8CB0 86C23188
	s_sub_u32 s14, s14, s66                                    // 000000003F24: 808E420E
	s_add_u32 s20, s20, s68                                    // 000000003F28: 80144414
	v_mfma_scale_f32_16x16x128_f8f6f4 a[180:183], v[136:139], v[28:31], a[180:183], v192, v185 op_sel_hi:[0,0,0] cbsz:4 blgp:4// 000000003F2C: D3AC5000 000373C0 D3AD8CB4 86D23988
	s_addc_u32 s21, 0, s21                                     // 000000003F3C: 82151580
	buffer_load_dwordx4 v[80:83], v201, s[16:19], 0 offen offset:1024// 000000003F40: E05C1400 800450C9
	v_mfma_scale_f32_16x16x128_f8f6f4 a[184:187], v[140:143], v[24:27], a[184:187], v192, v185 op_sel_hi:[0,0,0] cbsz:4 blgp:4// 000000003F48: D3AC6800 000373C0 D3AD8CB8 86E2318C
	s_sub_u32 s22, s22, s68                                    // 000000003F58: 80964416
	v_mfma_scale_f32_16x16x128_f8f6f4 a[188:191], v[140:143], v[28:31], a[188:191], v192, v185 op_sel_hi:[0,0,0] cbsz:4 blgp:4// 000000003F5C: D3AC5800 000373C0 D3AD8CBC 86F2398C
	buffer_load_dwordx4 v[84:87], v202, s[16:19], 0 offen offset:1024// 000000003F6C: E05C1400 800454CA
	v_mfma_scale_f32_16x16x128_f8f6f4 a[176:179], v[144:147], v[32:35], a[176:179], v192, v185 op_sel_hi:[0,0,0] cbsz:4 blgp:4// 000000003F74: D3AC6000 180373C0 D3AD8CB0 86C24190
	v_mfma_scale_f32_16x16x128_f8f6f4 a[180:183], v[144:147], v[36:39], a[180:183], v192, v185 op_sel_hi:[0,0,0] cbsz:4 blgp:4// 000000003F84: D3AC5000 180373C0 D3AD8CB4 86D24990
	buffer_load_dword v188, v215, s[24:27], 0 offen            // 000000003F94: E0501000 8006BCD7
	v_mfma_scale_f32_16x16x128_f8f6f4 a[184:187], v[148:151], v[32:35], a[184:187], v192, v185 op_sel_hi:[0,0,0] cbsz:4 blgp:4// 000000003F9C: D3AC6800 180373C0 D3AD8CB8 86E24194
	v_mfma_scale_f32_16x16x128_f8f6f4 a[188:191], v[148:151], v[36:39], a[188:191], v192, v185 op_sel_hi:[0,0,0] cbsz:4 blgp:4// 000000003FAC: D3AC7800 180373C0 D3AD8CBC 86F24994
	s_waitcnt vmcnt(13)                                        // 000000003FBC: BF8C0F7D
	v_mfma_scale_f32_16x16x128_f8f6f4 a[80:83], v[152:155], v[8:11], a[80:83], v193, v184 op_sel_hi:[0,0,0] cbsz:4 blgp:4// 000000003FC0: D3AC6000 000371C1 D3AD8C50 85421198
	v_mfma_scale_f32_16x16x128_f8f6f4 a[84:87], v[152:155], v[12:15], a[84:87], v193, v184 op_sel_hi:[0,0,0] cbsz:4 blgp:4// 000000003FD0: D3AC7000 000371C1 D3AD8C54 85521998
	buffer_load_dwordx4 v[88:91], v203, s[16:19], 0 offen      // 000000003FE0: E05C1000 800458CB
	v_mfma_scale_f32_16x16x128_f8f6f4 a[88:91], v[156:159], v[8:11], a[88:91], v193, v184 op_sel_hi:[0,0,0] cbsz:4 blgp:4// 000000003FE8: D3AC6800 000371C1 D3AD8C58 8562119C
	v_mfma_scale_f32_16x16x128_f8f6f4 a[92:95], v[156:159], v[12:15], a[92:95], v193, v184 op_sel_hi:[0,0,0] cbsz:4 blgp:4// 000000003FF8: D3AC7800 000371C1 D3AD8C5C 8572199C
	buffer_load_dwordx4 v[92:95], v204, s[16:19], 0 offen      // 000000004008: E05C1000 80045CCC
	v_mfma_scale_f32_16x16x128_f8f6f4 a[80:83], v[160:163], v[16:19], a[80:83], v193, v184 op_sel_hi:[0,0,0] cbsz:4 blgp:4// 000000004010: D3AC6000 180371C1 D3AD8C50 854221A0
	v_mfma_scale_f32_16x16x128_f8f6f4 a[84:87], v[160:163], v[20:23], a[84:87], v193, v184 op_sel_hi:[0,0,0] cbsz:4 blgp:4// 000000004020: D3AC7000 180371C1 D3AD8C54 855229A0
	buffer_load_dwordx4 v[96:99], v203, s[16:19], 0 offen offset:1024// 000000004030: E05C1400 800460CB
	v_mfma_scale_f32_16x16x128_f8f6f4 a[88:91], v[164:167], v[16:19], a[88:91], v193, v184 op_sel_hi:[0,0,0] cbsz:4 blgp:4// 000000004038: D3AC6800 180371C1 D3AD8C58 856221A4
	v_mfma_scale_f32_16x16x128_f8f6f4 a[92:95], v[164:167], v[20:23], a[92:95], v193, v184 op_sel_hi:[0,0,0] cbsz:4 blgp:4// 000000004048: D3AC7800 180371C1 D3AD8C5C 857229A4
	buffer_load_dwordx4 v[100:103], v204, s[16:19], 0 offen offset:1024// 000000004058: E05C1400 800464CC
	v_mfma_scale_f32_16x16x128_f8f6f4 a[192:195], v[152:155], v[24:27], a[192:195], v193, v185 op_sel_hi:[0,0,0] cbsz:4 blgp:4// 000000004060: D3AC6000 000373C1 D3AD8CC0 87023198
	v_mfma_scale_f32_16x16x128_f8f6f4 a[196:199], v[152:155], v[28:31], a[196:199], v193, v185 op_sel_hi:[0,0,0] cbsz:4 blgp:4// 000000004070: D3AC7000 000373C1 D3AD8CC4 87123998
	buffer_load_dword v189, v216, s[24:27], 0 offen            // 000000004080: E0501000 8006BDD8
	v_mfma_scale_f32_16x16x128_f8f6f4 a[200:203], v[156:159], v[24:27], a[200:203], v193, v185 op_sel_hi:[0,0,0] cbsz:4 blgp:4// 000000004088: D3AC6800 000373C1 D3AD8CC8 8722319C
	v_mfma_scale_f32_16x16x128_f8f6f4 a[204:207], v[156:159], v[28:31], a[204:207], v193, v185 op_sel_hi:[0,0,0] cbsz:4 blgp:4// 000000004098: D3AC7800 000373C1 D3AD8CCC 8732399C
	v_mfma_scale_f32_16x16x128_f8f6f4 a[192:195], v[160:163], v[32:35], a[192:195], v193, v185 op_sel_hi:[0,0,0] cbsz:4 blgp:4// 0000000040A8: D3AC6000 180373C1 D3AD8CC0 870241A0
	v_mfma_scale_f32_16x16x128_f8f6f4 a[196:199], v[160:163], v[36:39], a[196:199], v193, v185 op_sel_hi:[0,0,0] cbsz:4 blgp:4// 0000000040B8: D3AC7000 180373C1 D3AD8CC4 871249A0
	v_mfma_scale_f32_16x16x128_f8f6f4 a[200:203], v[164:167], v[32:35], a[200:203], v193, v185 op_sel_hi:[0,0,0] cbsz:4 blgp:4// 0000000040C8: D3AC6800 180373C1 D3AD8CC8 872241A4
	v_mfma_scale_f32_16x16x128_f8f6f4 a[204:207], v[164:167], v[36:39], a[204:207], v193, v185 op_sel_hi:[0,0,0] cbsz:4 blgp:4// 0000000040D8: D3AC7800 180373C1 D3AD8CCC 873249A4
	s_waitcnt vmcnt(10)                                        // 0000000040E8: BF8C0F7A
	s_barrier                                                  // 0000000040EC: BF8A0000
	v_mfma_scale_f32_16x16x128_f8f6f4 a[96:99], v[168:171], v[8:11], a[96:99], v194, v184 op_sel_hi:[0,0,0] cbsz:4 blgp:4// 0000000040F0: D3AC6000 000371C2 D3AD8C60 858211A8
	s_addk_i32 s60, 0x100                                      // 000000004100: B73C0100
	ds_read_b128 v[40:43], v198                                // 000000004104: D9FE0000 280000C6
	v_mfma_scale_f32_16x16x128_f8f6f4 a[100:103], v[168:171], v[12:15], a[100:103], v194, v184 op_sel_hi:[0,0,0] cbsz:4 blgp:4// 00000000410C: D3AC7000 000371C2 D3AD8C64 859219A8
	s_cmp_lt_i32 s60, s61                                      // 00000000411C: BF043D3C
	buffer_load_dwordx4 v[104:107], v205, s[16:19], 0 offen    // 000000004120: E05C1000 800468CD
	v_mfma_scale_f32_16x16x128_f8f6f4 a[104:107], v[172:175], v[8:11], a[104:107], v194, v184 op_sel_hi:[0,0,0] cbsz:4 blgp:4// 000000004128: D3AC6800 000371C2 D3AD8C68 85A211AC
	ds_read_b128 v[48:51], v198 offset:64                      // 000000004138: D9FE0040 300000C6
	v_mfma_scale_f32_16x16x128_f8f6f4 a[108:111], v[172:175], v[12:15], a[108:111], v194, v184 op_sel_hi:[0,0,0] cbsz:4 blgp:4// 000000004140: D3AC7800 000371C2 D3AD8C6C 85B219AC
	buffer_load_dwordx4 v[108:111], v206, s[16:19], 0 offen    // 000000004150: E05C1000 80046CCE
	v_mfma_scale_f32_16x16x128_f8f6f4 a[96:99], v[176:179], v[16:19], a[96:99], v194, v184 op_sel_hi:[0,0,0] cbsz:4 blgp:4// 000000004158: D3AC6000 180371C2 D3AD8C60 858221B0
	ds_read_b128 v[44:47], v198 offset:512                     // 000000004168: D9FE0200 2C0000C6
	v_mfma_scale_f32_16x16x128_f8f6f4 a[100:103], v[176:179], v[20:23], a[100:103], v194, v184 op_sel_hi:[0,0,0] cbsz:4 blgp:4// 000000004170: D3AC7000 180371C2 D3AD8C64 859229B0
	buffer_load_dwordx4 v[112:115], v205, s[16:19], 0 offen offset:1024// 000000004180: E05C1400 800470CD
	v_mfma_scale_f32_16x16x128_f8f6f4 a[104:107], v[180:183], v[16:19], a[104:107], v194, v184 op_sel_hi:[0,0,0] cbsz:4 blgp:4// 000000004188: D3AC6800 180371C2 D3AD8C68 85A221B4
	ds_read_b128 v[52:55], v198 offset:576                     // 000000004198: D9FE0240 340000C6
	v_mfma_scale_f32_16x16x128_f8f6f4 a[108:111], v[180:183], v[20:23], a[108:111], v194, v184 op_sel_hi:[0,0,0] cbsz:4 blgp:4// 0000000041A0: D3AC1800 180371C2 D3AD8C6C 85B229B4
	buffer_load_dwordx4 v[116:119], v206, s[16:19], 0 offen offset:1024// 0000000041B0: E05C1400 800474CE
	ds_read_b32 v186, v200 offset:1024                         // 0000000041B8: D86C0400 BA0000C8
	v_mfma_scale_f32_16x16x128_f8f6f4 a[208:211], v[168:171], v[24:27], a[208:211], v194, v185 op_sel_hi:[0,0,0] cbsz:4 blgp:4// 0000000041C0: D3AC6000 000373C2 D3AD8CD0 874231A8
	ds_read_b128 v[56:59], v198 offset:4224                    // 0000000041D0: D9FE1080 380000C6
	v_mfma_scale_f32_16x16x128_f8f6f4 a[212:215], v[168:171], v[28:31], a[212:215], v194, v185 op_sel_hi:[0,0,0] cbsz:4 blgp:4// 0000000041D8: D3AC7000 000373C2 D3AD8CD4 875239A8
	buffer_load_dword v190, v217, s[24:27], 0 offen            // 0000000041E8: E0501000 8006BED9
	v_mfma_scale_f32_16x16x128_f8f6f4 a[216:219], v[172:175], v[24:27], a[216:219], v194, v185 op_sel_hi:[0,0,0] cbsz:4 blgp:4// 0000000041F0: D3AC6800 000373C2 D3AD8CD8 876231AC
	ds_read_b128 v[64:67], v198 offset:4288                    // 000000004200: D9FE10C0 400000C6
	v_mfma_scale_f32_16x16x128_f8f6f4 a[220:223], v[172:175], v[28:31], a[220:223], v194, v185 op_sel_hi:[0,0,0] cbsz:4 blgp:4// 000000004208: D3AC7800 000373C2 D3AD8CDC 877239AC
	v_mfma_scale_f32_16x16x128_f8f6f4 a[208:211], v[176:179], v[32:35], a[208:211], v194, v185 op_sel_hi:[0,0,0] cbsz:4 blgp:4// 000000004218: D3AC6000 180373C2 D3AD8CD0 874241B0
	ds_read_b128 v[60:63], v198 offset:4736                    // 000000004228: D9FE1280 3C0000C6
	v_mfma_scale_f32_16x16x128_f8f6f4 a[212:215], v[176:179], v[36:39], a[212:215], v194, v185 op_sel_hi:[0,0,0] cbsz:4 blgp:4// 000000004230: D3AC7000 180373C2 D3AD8CD4 875249B0
	v_mfma_scale_f32_16x16x128_f8f6f4 a[216:219], v[180:183], v[32:35], a[216:219], v194, v185 op_sel_hi:[0,0,0] cbsz:4 blgp:4// 000000004240: D3AC6800 180373C2 D3AD8CD8 876241B4
	ds_read_b128 v[68:71], v198 offset:4800                    // 000000004250: D9FE12C0 440000C6
	v_mfma_scale_f32_16x16x128_f8f6f4 a[220:223], v[180:183], v[36:39], a[220:223], v194, v185 op_sel_hi:[0,0,0] cbsz:4 blgp:4// 000000004258: D3AC7800 180373C2 D3AD8CDC 877249B4
	ds_read_b32 v187, v200 offset:1280                         // 000000004268: D86C0500 BB0000C8
	s_cbranch_scc0 label_0C73                                  // 000000004270: BF8406D6
	s_waitcnt vmcnt(10) lgkmcnt(5)                             // 000000004274: BF8C057A
	v_mfma_scale_f32_16x16x128_f8f6f4 a[0:3], v[72:75], v[40:43], a[0:3], v188, v186 op_sel_hi:[0,0,0] cbsz:4 blgp:4// 000000004278: D3AC6000 000375BC D3AD8C00 84025148
	v_mfma_scale_f32_16x16x128_f8f6f4 a[4:7], v[72:75], v[44:47], a[4:7], v188, v186 op_sel_hi:[0,0,0] cbsz:4 blgp:4// 000000004288: D3AC7000 000375BC D3AD8C04 84125948
	buffer_load_dwordx4 v[120:123], v207, s[16:19], 0 offen    // 000000004298: E05C1000 800478CF
	v_mfma_scale_f32_16x16x128_f8f6f4 a[8:11], v[76:79], v[40:43], a[8:11], v188, v186 op_sel_hi:[0,0,0] cbsz:4 blgp:4// 0000000042A0: D3AC6800 000375BC D3AD8C08 8422514C
	v_mfma_scale_f32_16x16x128_f8f6f4 a[12:15], v[76:79], v[44:47], a[12:15], v188, v186 op_sel_hi:[0,0,0] cbsz:4 blgp:4// 0000000042B0: D3AC7800 000375BC D3AD8C0C 8432594C
	buffer_load_dwordx4 v[124:127], v208, s[16:19], 0 offen    // 0000000042C0: E05C1000 80047CD0
	v_mfma_scale_f32_16x16x128_f8f6f4 a[0:3], v[80:83], v[48:51], a[0:3], v188, v186 op_sel_hi:[0,0,0] cbsz:4 blgp:4// 0000000042C8: D3AC6000 180375BC D3AD8C00 84026150
	v_mfma_scale_f32_16x16x128_f8f6f4 a[4:7], v[80:83], v[52:55], a[4:7], v188, v186 op_sel_hi:[0,0,0] cbsz:4 blgp:4// 0000000042D8: D3AC7000 180375BC D3AD8C04 84126950
	buffer_load_dwordx4 v[128:131], v207, s[16:19], 0 offen offset:1024// 0000000042E8: E05C1400 800480CF
	v_mfma_scale_f32_16x16x128_f8f6f4 a[8:11], v[84:87], v[48:51], a[8:11], v188, v186 op_sel_hi:[0,0,0] cbsz:4 blgp:4// 0000000042F0: D3AC6800 180375BC D3AD8C08 84226154
	v_mfma_scale_f32_16x16x128_f8f6f4 a[12:15], v[84:87], v[52:55], a[12:15], v188, v186 op_sel_hi:[0,0,0] cbsz:4 blgp:4// 000000004300: D3AC7800 180375BC D3AD8C0C 84326954
	buffer_load_dwordx4 v[132:135], v208, s[16:19], 0 offen offset:1024// 000000004310: E05C1400 800484D0
	s_waitcnt lgkmcnt(0)                                       // 000000004318: BF8CC07F
	v_mfma_scale_f32_16x16x128_f8f6f4 a[112:115], v[72:75], v[56:59], a[112:115], v188, v187 op_sel_hi:[0,0,0] cbsz:4 blgp:4// 00000000431C: D3AC6000 000377BC D3AD8C70 85C27148
	v_mfma_scale_f32_16x16x128_f8f6f4 a[116:119], v[72:75], v[60:63], a[116:119], v188, v187 op_sel_hi:[0,0,0] cbsz:4 blgp:4// 00000000432C: D3AC7000 000377BC D3AD8C74 85D27948
	buffer_load_dword v191, v218, s[24:27], 0 offen            // 00000000433C: E0501000 8006BFDA
	v_mfma_scale_f32_16x16x128_f8f6f4 a[120:123], v[76:79], v[56:59], a[120:123], v188, v187 op_sel_hi:[0,0,0] cbsz:4 blgp:4// 000000004344: D3AC6800 000377BC D3AD8C78 85E2714C
	v_mfma_scale_f32_16x16x128_f8f6f4 a[124:127], v[76:79], v[60:63], a[124:127], v188, v187 op_sel_hi:[0,0,0] cbsz:4 blgp:4// 000000004354: D3AC7800 000377BC D3AD8C7C 85F2794C
	v_mfma_scale_f32_16x16x128_f8f6f4 a[112:115], v[80:83], v[64:67], a[112:115], v188, v187 op_sel_hi:[0,0,0] cbsz:4 blgp:4// 000000004364: D3AC6000 180377BC D3AD8C70 85C28150
	v_mfma_scale_f32_16x16x128_f8f6f4 a[116:119], v[80:83], v[68:71], a[116:119], v188, v187 op_sel_hi:[0,0,0] cbsz:4 blgp:4// 000000004374: D3AC7000 180377BC D3AD8C74 85D28950
	v_mfma_scale_f32_16x16x128_f8f6f4 a[120:123], v[84:87], v[64:67], a[120:123], v188, v187 op_sel_hi:[0,0,0] cbsz:4 blgp:4// 000000004384: D3AC6800 180377BC D3AD8C78 85E28154
	v_mfma_scale_f32_16x16x128_f8f6f4 a[124:127], v[84:87], v[68:71], a[124:127], v188, v187 op_sel_hi:[0,0,0] cbsz:4 blgp:4// 000000004394: D3AC7800 180377BC D3AD8C7C 85F28954
	s_waitcnt vmcnt(10)                                        // 0000000043A4: BF8C0F7A
	v_mfma_scale_f32_16x16x128_f8f6f4 a[16:19], v[88:91], v[40:43], a[16:19], v189, v186 op_sel_hi:[0,0,0] cbsz:4 blgp:4// 0000000043A8: D3AC6000 000375BD D3AD8C10 84425158
	v_mfma_scale_f32_16x16x128_f8f6f4 a[20:23], v[88:91], v[44:47], a[20:23], v189, v186 op_sel_hi:[0,0,0] cbsz:4 blgp:4// 0000000043B8: D3AC7000 000375BD D3AD8C14 84525958
	buffer_load_dwordx4 v[136:139], v209, s[16:19], 0 offen    // 0000000043C8: E05C1000 800488D1
	v_mfma_scale_f32_16x16x128_f8f6f4 a[24:27], v[92:95], v[40:43], a[24:27], v189, v186 op_sel_hi:[0,0,0] cbsz:4 blgp:4// 0000000043D0: D3AC6800 000375BD D3AD8C18 8462515C
	v_mfma_scale_f32_16x16x128_f8f6f4 a[28:31], v[92:95], v[44:47], a[28:31], v189, v186 op_sel_hi:[0,0,0] cbsz:4 blgp:4// 0000000043E0: D3AC7800 000375BD D3AD8C1C 8472595C
	buffer_load_dwordx4 v[140:143], v210, s[16:19], 0 offen    // 0000000043F0: E05C1000 80048CD2
	v_mfma_scale_f32_16x16x128_f8f6f4 a[16:19], v[96:99], v[48:51], a[16:19], v189, v186 op_sel_hi:[0,0,0] cbsz:4 blgp:4// 0000000043F8: D3AC6000 180375BD D3AD8C10 84426160
	v_mfma_scale_f32_16x16x128_f8f6f4 a[20:23], v[96:99], v[52:55], a[20:23], v189, v186 op_sel_hi:[0,0,0] cbsz:4 blgp:4// 000000004408: D3AC7000 180375BD D3AD8C14 84526960
	buffer_load_dwordx4 v[144:147], v209, s[16:19], 0 offen offset:1024// 000000004418: E05C1400 800490D1
	v_mfma_scale_f32_16x16x128_f8f6f4 a[24:27], v[100:103], v[48:51], a[24:27], v189, v186 op_sel_hi:[0,0,0] cbsz:4 blgp:4// 000000004420: D3AC6800 180375BD D3AD8C18 84626164
	v_mfma_scale_f32_16x16x128_f8f6f4 a[28:31], v[100:103], v[52:55], a[28:31], v189, v186 op_sel_hi:[0,0,0] cbsz:4 blgp:4// 000000004430: D3AC7800 180375BD D3AD8C1C 84726964
	buffer_load_dwordx4 v[148:151], v210, s[16:19], 0 offen offset:1024// 000000004440: E05C1400 800494D2
	v_mfma_scale_f32_16x16x128_f8f6f4 a[128:131], v[88:91], v[56:59], a[128:131], v189, v187 op_sel_hi:[0,0,0] cbsz:4 blgp:4// 000000004448: D3AC6000 000377BD D3AD8C80 86027158
	v_mfma_scale_f32_16x16x128_f8f6f4 a[132:135], v[88:91], v[60:63], a[132:135], v189, v187 op_sel_hi:[0,0,0] cbsz:4 blgp:4// 000000004458: D3AC7000 000377BD D3AD8C84 86127958
	buffer_load_dword v192, v219, s[24:27], 0 offen            // 000000004468: E0501000 8006C0DB
	v_mfma_scale_f32_16x16x128_f8f6f4 a[136:139], v[92:95], v[56:59], a[136:139], v189, v187 op_sel_hi:[0,0,0] cbsz:4 blgp:4// 000000004470: D3AC6800 000377BD D3AD8C88 8622715C
	v_mfma_scale_f32_16x16x128_f8f6f4 a[140:143], v[92:95], v[60:63], a[140:143], v189, v187 op_sel_hi:[0,0,0] cbsz:4 blgp:4// 000000004480: D3AC7800 000377BD D3AD8C8C 8632795C
	v_mfma_scale_f32_16x16x128_f8f6f4 a[128:131], v[96:99], v[64:67], a[128:131], v189, v187 op_sel_hi:[0,0,0] cbsz:4 blgp:4// 000000004490: D3AC6000 180377BD D3AD8C80 86028160
	v_mfma_scale_f32_16x16x128_f8f6f4 a[132:135], v[96:99], v[68:71], a[132:135], v189, v187 op_sel_hi:[0,0,0] cbsz:4 blgp:4// 0000000044A0: D3AC7000 180377BD D3AD8C84 86128960
	v_mfma_scale_f32_16x16x128_f8f6f4 a[136:139], v[100:103], v[64:67], a[136:139], v189, v187 op_sel_hi:[0,0,0] cbsz:4 blgp:4// 0000000044B0: D3AC6800 180377BD D3AD8C88 86228164
	v_mfma_scale_f32_16x16x128_f8f6f4 a[140:143], v[100:103], v[68:71], a[140:143], v189, v187 op_sel_hi:[0,0,0] cbsz:4 blgp:4// 0000000044C0: D3AC7800 180377BD D3AD8C8C 86328964
	s_waitcnt vmcnt(10)                                        // 0000000044D0: BF8C0F7A
	v_mfma_scale_f32_16x16x128_f8f6f4 a[32:35], v[104:107], v[40:43], a[32:35], v190, v186 op_sel_hi:[0,0,0] cbsz:4 blgp:4// 0000000044D4: D3AC6000 000375BE D3AD8C20 84825168
	v_mfma_scale_f32_16x16x128_f8f6f4 a[36:39], v[104:107], v[44:47], a[36:39], v190, v186 op_sel_hi:[0,0,0] cbsz:4 blgp:4// 0000000044E4: D3AC7000 000375BE D3AD8C24 84925968
	buffer_load_dwordx4 v[152:155], v211, s[16:19], 0 offen    // 0000000044F4: E05C1000 800498D3
	v_mfma_scale_f32_16x16x128_f8f6f4 a[40:43], v[108:111], v[40:43], a[40:43], v190, v186 op_sel_hi:[0,0,0] cbsz:4 blgp:4// 0000000044FC: D3AC6800 000375BE D3AD8C28 84A2516C
	v_mfma_scale_f32_16x16x128_f8f6f4 a[44:47], v[108:111], v[44:47], a[44:47], v190, v186 op_sel_hi:[0,0,0] cbsz:4 blgp:4// 00000000450C: D3AC7800 000375BE D3AD8C2C 84B2596C
	buffer_load_dwordx4 v[156:159], v212, s[16:19], 0 offen    // 00000000451C: E05C1000 80049CD4
	v_mfma_scale_f32_16x16x128_f8f6f4 a[32:35], v[112:115], v[48:51], a[32:35], v190, v186 op_sel_hi:[0,0,0] cbsz:4 blgp:4// 000000004524: D3AC6000 180375BE D3AD8C20 84826170
	v_mfma_scale_f32_16x16x128_f8f6f4 a[36:39], v[112:115], v[52:55], a[36:39], v190, v186 op_sel_hi:[0,0,0] cbsz:4 blgp:4// 000000004534: D3AC7000 180375BE D3AD8C24 84926970
	buffer_load_dwordx4 v[160:163], v211, s[16:19], 0 offen offset:1024// 000000004544: E05C1400 8004A0D3
	v_mfma_scale_f32_16x16x128_f8f6f4 a[40:43], v[116:119], v[48:51], a[40:43], v190, v186 op_sel_hi:[0,0,0] cbsz:4 blgp:4// 00000000454C: D3AC6800 180375BE D3AD8C28 84A26174
	v_mfma_scale_f32_16x16x128_f8f6f4 a[44:47], v[116:119], v[52:55], a[44:47], v190, v186 op_sel_hi:[0,0,0] cbsz:4 blgp:4// 00000000455C: D3AC7800 180375BE D3AD8C2C 84B26974
	buffer_load_dwordx4 v[164:167], v212, s[16:19], 0 offen offset:1024// 00000000456C: E05C1400 8004A4D4
	v_mfma_scale_f32_16x16x128_f8f6f4 a[144:147], v[104:107], v[56:59], a[144:147], v190, v187 op_sel_hi:[0,0,0] cbsz:4 blgp:4// 000000004574: D3AC6000 000377BE D3AD8C90 86427168
	v_mfma_scale_f32_16x16x128_f8f6f4 a[148:151], v[104:107], v[60:63], a[148:151], v190, v187 op_sel_hi:[0,0,0] cbsz:4 blgp:4// 000000004584: D3AC7000 000377BE D3AD8C94 86527968
	buffer_load_dword v193, v220, s[24:27], 0 offen            // 000000004594: E0501000 8006C1DC
	v_mfma_scale_f32_16x16x128_f8f6f4 a[152:155], v[108:111], v[56:59], a[152:155], v190, v187 op_sel_hi:[0,0,0] cbsz:4 blgp:4// 00000000459C: D3AC6800 000377BE D3AD8C98 8662716C
	v_mfma_scale_f32_16x16x128_f8f6f4 a[156:159], v[108:111], v[60:63], a[156:159], v190, v187 op_sel_hi:[0,0,0] cbsz:4 blgp:4// 0000000045AC: D3AC7800 000377BE D3AD8C9C 8672796C
	v_mfma_scale_f32_16x16x128_f8f6f4 a[144:147], v[112:115], v[64:67], a[144:147], v190, v187 op_sel_hi:[0,0,0] cbsz:4 blgp:4// 0000000045BC: D3AC6000 180377BE D3AD8C90 86428170
	v_mfma_scale_f32_16x16x128_f8f6f4 a[148:151], v[112:115], v[68:71], a[148:151], v190, v187 op_sel_hi:[0,0,0] cbsz:4 blgp:4// 0000000045CC: D3AC7000 180377BE D3AD8C94 86528970
	v_mfma_scale_f32_16x16x128_f8f6f4 a[152:155], v[116:119], v[64:67], a[152:155], v190, v187 op_sel_hi:[0,0,0] cbsz:4 blgp:4// 0000000045DC: D3AC6800 180377BE D3AD8C98 86628174
	v_mfma_scale_f32_16x16x128_f8f6f4 a[156:159], v[116:119], v[68:71], a[156:159], v190, v187 op_sel_hi:[0,0,0] cbsz:4 blgp:4// 0000000045EC: D3AC7800 180377BE D3AD8C9C 86728974
	s_waitcnt vmcnt(10)                                        // 0000000045FC: BF8C0F7A
	v_mfma_scale_f32_16x16x128_f8f6f4 a[48:51], v[120:123], v[40:43], a[48:51], v191, v186 op_sel_hi:[0,0,0] cbsz:4 blgp:4// 000000004600: D3AC6000 000375BF D3AD8C30 84C25178
	s_add_u32 s63, 0x100, s60                                  // 000000004610: 803F3CFF 00000100
	s_cmp_lt_u32 s63, s61                                      // 000000004618: BF0A3D3F
	v_mfma_scale_f32_16x16x128_f8f6f4 a[52:55], v[120:123], v[44:47], a[52:55], v191, v186 op_sel_hi:[0,0,0] cbsz:4 blgp:4// 00000000461C: D3AC7000 000375BF D3AD8C34 84D25978
	s_cselect_b32 s67, s67, 0                                  // 00000000462C: 85438043
	buffer_load_dwordx4 v[168:171], v213, s[16:19], 0 offen    // 000000004630: E05C1000 8004A8D5
	v_mfma_scale_f32_16x16x128_f8f6f4 a[56:59], v[124:127], v[40:43], a[56:59], v191, v186 op_sel_hi:[0,0,0] cbsz:4 blgp:4// 000000004638: D3AC6800 000375BF D3AD8C38 84E2517C
	s_cselect_b32 s69, s69, 0                                  // 000000004648: 85458045
	v_mfma_scale_f32_16x16x128_f8f6f4 a[60:63], v[124:127], v[44:47], a[60:63], v191, v186 op_sel_hi:[0,0,0] cbsz:4 blgp:4// 00000000464C: D3AC7800 000375BF D3AD8C3C 84F2597C
	buffer_load_dwordx4 v[172:175], v214, s[16:19], 0 offen    // 00000000465C: E05C1000 8004ACD6
	v_mfma_scale_f32_16x16x128_f8f6f4 a[48:51], v[128:131], v[48:51], a[48:51], v191, v186 op_sel_hi:[0,0,0] cbsz:4 blgp:4// 000000004664: D3AC6000 180375BF D3AD8C30 84C26180
	v_mfma_scale_f32_16x16x128_f8f6f4 a[52:55], v[128:131], v[52:55], a[52:55], v191, v186 op_sel_hi:[0,0,0] cbsz:4 blgp:4// 000000004674: D3AC7000 180375BF D3AD8C34 84D26980
	buffer_load_dwordx4 v[176:179], v213, s[16:19], 0 offen offset:1024// 000000004684: E05C1400 8004B0D5
	v_mfma_scale_f32_16x16x128_f8f6f4 a[56:59], v[132:135], v[48:51], a[56:59], v191, v186 op_sel_hi:[0,0,0] cbsz:4 blgp:4// 00000000468C: D3AC6800 180375BF D3AD8C38 84E26184
	v_mfma_scale_f32_16x16x128_f8f6f4 a[60:63], v[132:135], v[52:55], a[60:63], v191, v186 op_sel_hi:[0,0,0] cbsz:4 blgp:4// 00000000469C: D3AC7800 180375BF D3AD8C3C 84F26984
	buffer_load_dwordx4 v[180:183], v214, s[16:19], 0 offen offset:1024// 0000000046AC: E05C1400 8004B4D6
	v_mfma_scale_f32_16x16x128_f8f6f4 a[160:163], v[120:123], v[56:59], a[160:163], v191, v187 op_sel_hi:[0,0,0] cbsz:4 blgp:4// 0000000046B4: D3AC6000 000377BF D3AD8CA0 86827178
	v_mfma_scale_f32_16x16x128_f8f6f4 a[164:167], v[120:123], v[60:63], a[164:167], v191, v187 op_sel_hi:[0,0,0] cbsz:4 blgp:4// 0000000046C4: D3AC7000 000377BF D3AD8CA4 86927978
	buffer_load_dword v194, v221, s[24:27], 0 offen            // 0000000046D4: E0501000 8006C2DD
	v_mfma_scale_f32_16x16x128_f8f6f4 a[168:171], v[124:127], v[56:59], a[168:171], v191, v187 op_sel_hi:[0,0,0] cbsz:4 blgp:4// 0000000046DC: D3AC6800 000377BF D3AD8CA8 86A2717C
	s_add_u32 s16, s16, s67                                    // 0000000046EC: 80104310
	s_addc_u32 s17, 0, s17                                     // 0000000046F0: 82111180
	v_mfma_scale_f32_16x16x128_f8f6f4 a[172:175], v[124:127], v[60:63], a[172:175], v191, v187 op_sel_hi:[0,0,0] cbsz:4 blgp:4// 0000000046F4: D3AC7800 000377BF D3AD8CAC 86B2797C
	s_sub_u32 s18, s18, s67                                    // 000000004704: 80924312
	s_add_u32 s24, s24, s69                                    // 000000004708: 80184518
	v_mfma_scale_f32_16x16x128_f8f6f4 a[160:163], v[128:131], v[64:67], a[160:163], v191, v187 op_sel_hi:[0,0,0] cbsz:4 blgp:4// 00000000470C: D3AC6000 180377BF D3AD8CA0 86828180
	s_addc_u32 s25, 0, s25                                     // 00000000471C: 82191980
	s_sub_u32 s26, s26, s69                                    // 000000004720: 809A451A
	v_mfma_scale_f32_16x16x128_f8f6f4 a[164:167], v[128:131], v[68:71], a[164:167], v191, v187 op_sel_hi:[0,0,0] cbsz:4 blgp:4// 000000004724: D3AC7000 180377BF D3AD8CA4 86928980
	s_add_u32 m0, 0, s65                                       // 000000004734: 807C4180
	buffer_load_dword v199, s[20:23], 0 offen lds              // 000000004738: E0511000 800500C7
	v_mfma_scale_f32_16x16x128_f8f6f4 a[168:171], v[132:135], v[64:67], a[168:171], v191, v187 op_sel_hi:[0,0,0] cbsz:4 blgp:4// 000000004740: D3AC6800 180377BF D3AD8CA8 86A28184
	v_mfma_scale_f32_16x16x128_f8f6f4 a[172:175], v[132:135], v[68:71], a[172:175], v191, v187 op_sel_hi:[0,0,0] cbsz:4 blgp:4// 000000004750: D3AC7800 180377BF D3AD8CAC 86B28984
	s_waitcnt vmcnt(11)                                        // 000000004760: BF8C0F7B
	v_mfma_scale_f32_16x16x128_f8f6f4 a[64:67], v[136:139], v[40:43], a[64:67], v192, v186 op_sel_hi:[0,0,0] cbsz:4 blgp:4// 000000004764: D3AC6000 000375C0 D3AD8C40 85025188
	v_mfma_scale_f32_16x16x128_f8f6f4 a[68:71], v[136:139], v[44:47], a[68:71], v192, v186 op_sel_hi:[0,0,0] cbsz:4 blgp:4// 000000004774: D3AC7000 000375C0 D3AD8C44 85125988
	s_add_u32 m0, 0, s64                                       // 000000004784: 807C4080
	buffer_load_dwordx4 v195, s[12:15], 0 offen lds            // 000000004788: E05D1000 800300C3
	v_mfma_scale_f32_16x16x128_f8f6f4 a[72:75], v[140:143], v[40:43], a[72:75], v192, v186 op_sel_hi:[0,0,0] cbsz:4 blgp:4// 000000004790: D3AC6800 000375C0 D3AD8C48 8522518C
	v_mfma_scale_f32_16x16x128_f8f6f4 a[76:79], v[140:143], v[44:47], a[76:79], v192, v186 op_sel_hi:[0,0,0] cbsz:4 blgp:4// 0000000047A0: D3AC7800 000375C0 D3AD8C4C 8532598C
	s_add_u32 m0, 0x1080, s64                                  // 0000000047B0: 807C40FF 00001080
	buffer_load_dwordx4 v196, s[12:15], 0 offen lds            // 0000000047B8: E05D1000 800300C4
	v_mfma_scale_f32_16x16x128_f8f6f4 a[64:67], v[144:147], v[48:51], a[64:67], v192, v186 op_sel_hi:[0,0,0] cbsz:4 blgp:4// 0000000047C0: D3AC6000 180375C0 D3AD8C40 85026190
	s_add_u32 s62, 0x200, s60                                  // 0000000047D0: 803E3CFF 00000200
	s_cmp_lt_u32 s62, s61                                      // 0000000047D8: BF0A3D3E
	v_mfma_scale_f32_16x16x128_f8f6f4 a[68:71], v[144:147], v[52:55], a[68:71], v192, v186 op_sel_hi:[0,0,0] cbsz:4 blgp:4// 0000000047DC: D3AC7000 180375C0 D3AD8C44 85126990
	s_cselect_b32 s66, s66, 0                                  // 0000000047EC: 85428042
	buffer_load_dwordx4 v[72:75], v201, s[16:19], 0 offen      // 0000000047F0: E05C1000 800448C9
	v_mfma_scale_f32_16x16x128_f8f6f4 a[72:75], v[148:151], v[48:51], a[72:75], v192, v186 op_sel_hi:[0,0,0] cbsz:4 blgp:4// 0000000047F8: D3AC6800 180375C0 D3AD8C48 85226194
	s_cselect_b32 s68, s68, 0                                  // 000000004808: 85448044
	s_add_u32 s12, s12, s66                                    // 00000000480C: 800C420C
	v_mfma_scale_f32_16x16x128_f8f6f4 a[76:79], v[148:151], v[52:55], a[76:79], v192, v186 op_sel_hi:[0,0,0] cbsz:4 blgp:4// 000000004810: D3AC7800 180375C0 D3AD8C4C 85326994
	s_addc_u32 s13, 0, s13                                     // 000000004820: 820D0D80
	buffer_load_dwordx4 v[76:79], v202, s[16:19], 0 offen      // 000000004824: E05C1000 80044CCA
	v_mfma_scale_f32_16x16x128_f8f6f4 a[176:179], v[136:139], v[56:59], a[176:179], v192, v187 op_sel_hi:[0,0,0] cbsz:4 blgp:4// 00000000482C: D3AC6000 000377C0 D3AD8CB0 86C27188
	s_sub_u32 s14, s14, s66                                    // 00000000483C: 808E420E
	s_add_u32 s20, s20, s68                                    // 000000004840: 80144414
	v_mfma_scale_f32_16x16x128_f8f6f4 a[180:183], v[136:139], v[60:63], a[180:183], v192, v187 op_sel_hi:[0,0,0] cbsz:4 blgp:4// 000000004844: D3AC7000 000377C0 D3AD8CB4 86D27988
	s_addc_u32 s21, 0, s21                                     // 000000004854: 82151580
	buffer_load_dwordx4 v[80:83], v201, s[16:19], 0 offen offset:1024// 000000004858: E05C1400 800450C9
	v_mfma_scale_f32_16x16x128_f8f6f4 a[184:187], v[140:143], v[56:59], a[184:187], v192, v187 op_sel_hi:[0,0,0] cbsz:4 blgp:4// 000000004860: D3AC6800 000377C0 D3AD8CB8 86E2718C
	s_sub_u32 s22, s22, s68                                    // 000000004870: 80964416
	v_mfma_scale_f32_16x16x128_f8f6f4 a[188:191], v[140:143], v[60:63], a[188:191], v192, v187 op_sel_hi:[0,0,0] cbsz:4 blgp:4// 000000004874: D3AC7800 000377C0 D3AD8CBC 86F2798C
	buffer_load_dwordx4 v[84:87], v202, s[16:19], 0 offen offset:1024// 000000004884: E05C1400 800454CA
	v_mfma_scale_f32_16x16x128_f8f6f4 a[176:179], v[144:147], v[64:67], a[176:179], v192, v187 op_sel_hi:[0,0,0] cbsz:4 blgp:4// 00000000488C: D3AC6000 180377C0 D3AD8CB0 86C28190
	v_mfma_scale_f32_16x16x128_f8f6f4 a[180:183], v[144:147], v[68:71], a[180:183], v192, v187 op_sel_hi:[0,0,0] cbsz:4 blgp:4// 00000000489C: D3AC7000 180377C0 D3AD8CB4 86D28990
	buffer_load_dword v188, v215, s[24:27], 0 offen            // 0000000048AC: E0501000 8006BCD7
	v_mfma_scale_f32_16x16x128_f8f6f4 a[184:187], v[148:151], v[64:67], a[184:187], v192, v187 op_sel_hi:[0,0,0] cbsz:4 blgp:4// 0000000048B4: D3AC6800 180377C0 D3AD8CB8 86E28194
	v_mfma_scale_f32_16x16x128_f8f6f4 a[188:191], v[148:151], v[68:71], a[188:191], v192, v187 op_sel_hi:[0,0,0] cbsz:4 blgp:4// 0000000048C4: D3AC7800 180377C0 D3AD8CBC 86F28994
	s_waitcnt vmcnt(13)                                        // 0000000048D4: BF8C0F7D
	v_mfma_scale_f32_16x16x128_f8f6f4 a[80:83], v[152:155], v[40:43], a[80:83], v193, v186 op_sel_hi:[0,0,0] cbsz:4 blgp:4// 0000000048D8: D3AC6000 000375C1 D3AD8C50 85425198
	v_mfma_scale_f32_16x16x128_f8f6f4 a[84:87], v[152:155], v[44:47], a[84:87], v193, v186 op_sel_hi:[0,0,0] cbsz:4 blgp:4// 0000000048E8: D3AC7000 000375C1 D3AD8C54 85525998
	buffer_load_dwordx4 v[88:91], v203, s[16:19], 0 offen      // 0000000048F8: E05C1000 800458CB
	v_mfma_scale_f32_16x16x128_f8f6f4 a[88:91], v[156:159], v[40:43], a[88:91], v193, v186 op_sel_hi:[0,0,0] cbsz:4 blgp:4// 000000004900: D3AC6800 000375C1 D3AD8C58 8562519C
	v_mfma_scale_f32_16x16x128_f8f6f4 a[92:95], v[156:159], v[44:47], a[92:95], v193, v186 op_sel_hi:[0,0,0] cbsz:4 blgp:4// 000000004910: D3AC7800 000375C1 D3AD8C5C 8572599C
	buffer_load_dwordx4 v[92:95], v204, s[16:19], 0 offen      // 000000004920: E05C1000 80045CCC
	v_mfma_scale_f32_16x16x128_f8f6f4 a[80:83], v[160:163], v[48:51], a[80:83], v193, v186 op_sel_hi:[0,0,0] cbsz:4 blgp:4// 000000004928: D3AC6000 180375C1 D3AD8C50 854261A0
	v_mfma_scale_f32_16x16x128_f8f6f4 a[84:87], v[160:163], v[52:55], a[84:87], v193, v186 op_sel_hi:[0,0,0] cbsz:4 blgp:4// 000000004938: D3AC7000 180375C1 D3AD8C54 855269A0
	buffer_load_dwordx4 v[96:99], v203, s[16:19], 0 offen offset:1024// 000000004948: E05C1400 800460CB
	v_mfma_scale_f32_16x16x128_f8f6f4 a[88:91], v[164:167], v[48:51], a[88:91], v193, v186 op_sel_hi:[0,0,0] cbsz:4 blgp:4// 000000004950: D3AC6800 180375C1 D3AD8C58 856261A4
	v_mfma_scale_f32_16x16x128_f8f6f4 a[92:95], v[164:167], v[52:55], a[92:95], v193, v186 op_sel_hi:[0,0,0] cbsz:4 blgp:4// 000000004960: D3AC7800 180375C1 D3AD8C5C 857269A4
	buffer_load_dwordx4 v[100:103], v204, s[16:19], 0 offen offset:1024// 000000004970: E05C1400 800464CC
	v_mfma_scale_f32_16x16x128_f8f6f4 a[192:195], v[152:155], v[56:59], a[192:195], v193, v187 op_sel_hi:[0,0,0] cbsz:4 blgp:4// 000000004978: D3AC6000 000377C1 D3AD8CC0 87027198
	v_mfma_scale_f32_16x16x128_f8f6f4 a[196:199], v[152:155], v[60:63], a[196:199], v193, v187 op_sel_hi:[0,0,0] cbsz:4 blgp:4// 000000004988: D3AC7000 000377C1 D3AD8CC4 87127998
	buffer_load_dword v189, v216, s[24:27], 0 offen            // 000000004998: E0501000 8006BDD8
	v_mfma_scale_f32_16x16x128_f8f6f4 a[200:203], v[156:159], v[56:59], a[200:203], v193, v187 op_sel_hi:[0,0,0] cbsz:4 blgp:4// 0000000049A0: D3AC6800 000377C1 D3AD8CC8 8722719C
	v_mfma_scale_f32_16x16x128_f8f6f4 a[204:207], v[156:159], v[60:63], a[204:207], v193, v187 op_sel_hi:[0,0,0] cbsz:4 blgp:4// 0000000049B0: D3AC7800 000377C1 D3AD8CCC 8732799C
	v_mfma_scale_f32_16x16x128_f8f6f4 a[192:195], v[160:163], v[64:67], a[192:195], v193, v187 op_sel_hi:[0,0,0] cbsz:4 blgp:4// 0000000049C0: D3AC6000 180377C1 D3AD8CC0 870281A0
	v_mfma_scale_f32_16x16x128_f8f6f4 a[196:199], v[160:163], v[68:71], a[196:199], v193, v187 op_sel_hi:[0,0,0] cbsz:4 blgp:4// 0000000049D0: D3AC7000 180377C1 D3AD8CC4 871289A0
	v_mfma_scale_f32_16x16x128_f8f6f4 a[200:203], v[164:167], v[64:67], a[200:203], v193, v187 op_sel_hi:[0,0,0] cbsz:4 blgp:4// 0000000049E0: D3AC6800 180377C1 D3AD8CC8 872281A4
	v_mfma_scale_f32_16x16x128_f8f6f4 a[204:207], v[164:167], v[68:71], a[204:207], v193, v187 op_sel_hi:[0,0,0] cbsz:4 blgp:4// 0000000049F0: D3AC7800 180377C1 D3AD8CCC 873289A4
	s_waitcnt vmcnt(10)                                        // 000000004A00: BF8C0F7A
	s_barrier                                                  // 000000004A04: BF8A0000
	v_mfma_scale_f32_16x16x128_f8f6f4 a[96:99], v[168:171], v[40:43], a[96:99], v194, v186 op_sel_hi:[0,0,0] cbsz:4 blgp:4// 000000004A08: D3AC6000 000375C2 D3AD8C60 858251A8
	s_addk_i32 s60, 0x100                                      // 000000004A18: B73C0100
	ds_read_b128 v[8:11], v197                                 // 000000004A1C: D9FE0000 080000C5
	v_mfma_scale_f32_16x16x128_f8f6f4 a[100:103], v[168:171], v[44:47], a[100:103], v194, v186 op_sel_hi:[0,0,0] cbsz:4 blgp:4// 000000004A24: D3AC7000 000375C2 D3AD8C64 859259A8
	s_cmp_lt_i32 s60, s61                                      // 000000004A34: BF043D3C
	buffer_load_dwordx4 v[104:107], v205, s[16:19], 0 offen    // 000000004A38: E05C1000 800468CD
	v_mfma_scale_f32_16x16x128_f8f6f4 a[104:107], v[172:175], v[40:43], a[104:107], v194, v186 op_sel_hi:[0,0,0] cbsz:4 blgp:4// 000000004A40: D3AC6800 000375C2 D3AD8C68 85A251AC
	ds_read_b128 v[16:19], v197 offset:64                      // 000000004A50: D9FE0040 100000C5
	v_mfma_scale_f32_16x16x128_f8f6f4 a[108:111], v[172:175], v[44:47], a[108:111], v194, v186 op_sel_hi:[0,0,0] cbsz:4 blgp:4// 000000004A58: D3AC7800 000375C2 D3AD8C6C 85B259AC
	buffer_load_dwordx4 v[108:111], v206, s[16:19], 0 offen    // 000000004A68: E05C1000 80046CCE
	v_mfma_scale_f32_16x16x128_f8f6f4 a[96:99], v[176:179], v[48:51], a[96:99], v194, v186 op_sel_hi:[0,0,0] cbsz:4 blgp:4// 000000004A70: D3AC6000 180375C2 D3AD8C60 858261B0
	ds_read_b128 v[12:15], v197 offset:512                     // 000000004A80: D9FE0200 0C0000C5
	v_mfma_scale_f32_16x16x128_f8f6f4 a[100:103], v[176:179], v[52:55], a[100:103], v194, v186 op_sel_hi:[0,0,0] cbsz:4 blgp:4// 000000004A88: D3AC7000 180375C2 D3AD8C64 859269B0
	buffer_load_dwordx4 v[112:115], v205, s[16:19], 0 offen offset:1024// 000000004A98: E05C1400 800470CD
	v_mfma_scale_f32_16x16x128_f8f6f4 a[104:107], v[180:183], v[48:51], a[104:107], v194, v186 op_sel_hi:[0,0,0] cbsz:4 blgp:4// 000000004AA0: D3AC6800 180375C2 D3AD8C68 85A261B4
	ds_read_b128 v[20:23], v197 offset:576                     // 000000004AB0: D9FE0240 140000C5
	v_mfma_scale_f32_16x16x128_f8f6f4 a[108:111], v[180:183], v[52:55], a[108:111], v194, v186 op_sel_hi:[0,0,0] cbsz:4 blgp:4// 000000004AB8: D3AC7800 180375C2 D3AD8C6C 85B269B4
	buffer_load_dwordx4 v[116:119], v206, s[16:19], 0 offen offset:1024// 000000004AC8: E05C1400 800474CE
	ds_read_b32 v184, v200                                     // 000000004AD0: D86C0000 B80000C8
	v_mfma_scale_f32_16x16x128_f8f6f4 a[208:211], v[168:171], v[56:59], a[208:211], v194, v187 op_sel_hi:[0,0,0] cbsz:4 blgp:4// 000000004AD8: D3AC6000 000377C2 D3AD8CD0 874271A8
	ds_read_b128 v[24:27], v197 offset:4224                    // 000000004AE8: D9FE1080 180000C5
	v_mfma_scale_f32_16x16x128_f8f6f4 a[212:215], v[168:171], v[60:63], a[212:215], v194, v187 op_sel_hi:[0,0,0] cbsz:4 blgp:4// 000000004AF0: D3AC7000 000377C2 D3AD8CD4 875279A8
	buffer_load_dword v190, v217, s[24:27], 0 offen            // 000000004B00: E0501000 8006BED9
	v_mfma_scale_f32_16x16x128_f8f6f4 a[216:219], v[172:175], v[56:59], a[216:219], v194, v187 op_sel_hi:[0,0,0] cbsz:4 blgp:4// 000000004B08: D3AC6800 000377C2 D3AD8CD8 876271AC
	ds_read_b128 v[32:35], v197 offset:4288                    // 000000004B18: D9FE10C0 200000C5
	v_mfma_scale_f32_16x16x128_f8f6f4 a[220:223], v[172:175], v[60:63], a[220:223], v194, v187 op_sel_hi:[0,0,0] cbsz:4 blgp:4// 000000004B20: D3AC7800 000377C2 D3AD8CDC 877279AC
	v_mfma_scale_f32_16x16x128_f8f6f4 a[208:211], v[176:179], v[64:67], a[208:211], v194, v187 op_sel_hi:[0,0,0] cbsz:4 blgp:4// 000000004B30: D3AC6000 180377C2 D3AD8CD0 874281B0
	ds_read_b128 v[28:31], v197 offset:4736                    // 000000004B40: D9FE1280 1C0000C5
	v_mfma_scale_f32_16x16x128_f8f6f4 a[212:215], v[176:179], v[68:71], a[212:215], v194, v187 op_sel_hi:[0,0,0] cbsz:4 blgp:4// 000000004B48: D3AC7000 180377C2 D3AD8CD4 875289B0
	v_mfma_scale_f32_16x16x128_f8f6f4 a[216:219], v[180:183], v[64:67], a[216:219], v194, v187 op_sel_hi:[0,0,0] cbsz:4 blgp:4// 000000004B58: D3AC6800 180377C2 D3AD8CD8 876281B4
	ds_read_b128 v[36:39], v197 offset:4800                    // 000000004B68: D9FE12C0 240000C5
	v_mfma_scale_f32_16x16x128_f8f6f4 a[220:223], v[180:183], v[68:71], a[220:223], v194, v187 op_sel_hi:[0,0,0] cbsz:4 blgp:4// 000000004B70: D3AC7800 180377C2 D3AD8CDC 877289B4
	ds_read_b32 v185, v200 offset:256                          // 000000004B80: D86C0100 B90000C8
	s_cbranch_scc0 label_0C73                                  // 000000004B88: BF840490
	s_branch label_0355                                        // 000000004B8C: BF82FB71

0000000000004b90 <label_07E4>:
	s_waitcnt vmcnt(10) lgkmcnt(5)                             // 000000004B90: BF8C057A
	v_mfma_scale_f32_16x16x128_f8f6f4 a[0:3], v[72:75], v[8:11], a[0:3], v188, v184 op_sel_hi:[0,0,0] cbsz:4 blgp:4// 000000004B94: D3AC6000 000371BC D3AD8C00 84021148
	buffer_load_dwordx4 v[120:123], v207, s[16:19], 0 offen    // 000000004BA4: E05C1000 800478CF
	v_mfma_scale_f32_16x16x128_f8f6f4 a[4:7], v[72:75], v[12:15], a[4:7], v188, v184 op_sel_hi:[0,0,0] cbsz:4 blgp:4// 000000004BAC: D3AC7000 000371BC D3AD8C04 84121948
	v_mfma_scale_f32_16x16x128_f8f6f4 a[8:11], v[76:79], v[8:11], a[8:11], v188, v184 op_sel_hi:[0,0,0] cbsz:4 blgp:4// 000000004BBC: D3AC6800 000371BC D3AD8C08 8422114C
	buffer_load_dwordx4 v[124:127], v208, s[16:19], 0 offen    // 000000004BCC: E05C1000 80047CD0
	v_mfma_scale_f32_16x16x128_f8f6f4 a[12:15], v[76:79], v[12:15], a[12:15], v188, v184 op_sel_hi:[0,0,0] cbsz:4 blgp:4// 000000004BD4: D3AC7800 000371BC D3AD8C0C 8432194C
	v_mfma_scale_f32_16x16x128_f8f6f4 a[0:3], v[80:83], v[16:19], a[0:3], v188, v184 op_sel_hi:[0,0,0] cbsz:4 blgp:4// 000000004BE4: D3AC6000 180371BC D3AD8C00 84022150
	buffer_load_dwordx4 v[128:131], v207, s[16:19], 0 offen offset:1024// 000000004BF4: E05C1400 800480CF
	v_mfma_scale_f32_16x16x128_f8f6f4 a[4:7], v[80:83], v[20:23], a[4:7], v188, v184 op_sel_hi:[0,0,0] cbsz:4 blgp:4// 000000004BFC: D3AC7000 180371BC D3AD8C04 84122950
	v_mfma_scale_f32_16x16x128_f8f6f4 a[8:11], v[84:87], v[16:19], a[8:11], v188, v184 op_sel_hi:[0,0,0] cbsz:4 blgp:4// 000000004C0C: D3AC0800 180371BC D3AD8C08 84222154
	buffer_load_dwordx4 v[132:135], v208, s[16:19], 0 offen offset:1024// 000000004C1C: E05C1400 800484D0
	v_mfma_scale_f32_16x16x128_f8f6f4 a[12:15], v[84:87], v[20:23], a[12:15], v188, v184 op_sel_hi:[0,0,0] cbsz:4 blgp:4// 000000004C24: D3AC7800 180371BC D3AD8C0C 84322954
	s_waitcnt lgkmcnt(0)                                       // 000000004C34: BF8CC07F
	v_mfma_scale_f32_16x16x128_f8f6f4 a[112:115], v[72:75], v[24:27], a[112:115], v188, v185 op_sel_hi:[0,0,0] cbsz:4 blgp:4// 000000004C38: D3AC6000 000373BC D3AD8C70 85C23148
	buffer_load_dword v191, v218, s[24:27], 0 offen            // 000000004C48: E0501000 8006BFDA
	v_mfma_scale_f32_16x16x128_f8f6f4 a[116:119], v[72:75], v[28:31], a[116:119], v188, v185 op_sel_hi:[0,0,0] cbsz:4 blgp:4// 000000004C50: D3AC7000 000373BC D3AD8C74 85D23948
	v_mfma_scale_f32_16x16x128_f8f6f4 a[120:123], v[76:79], v[24:27], a[120:123], v188, v185 op_sel_hi:[0,0,0] cbsz:4 blgp:4// 000000004C60: D3AC6800 000373BC D3AD8C78 85E2314C
	v_mfma_scale_f32_16x16x128_f8f6f4 a[124:127], v[76:79], v[28:31], a[124:127], v188, v185 op_sel_hi:[0,0,0] cbsz:4 blgp:4// 000000004C70: D3AC7800 000373BC D3AD8C7C 85F2394C
	v_mfma_scale_f32_16x16x128_f8f6f4 a[112:115], v[80:83], v[32:35], a[112:115], v188, v185 op_sel_hi:[0,0,0] cbsz:4 blgp:4// 000000004C80: D3AC6000 180373BC D3AD8C70 85C24150
	v_mfma_scale_f32_16x16x128_f8f6f4 a[116:119], v[80:83], v[36:39], a[116:119], v188, v185 op_sel_hi:[0,0,0] cbsz:4 blgp:4// 000000004C90: D3AC7000 180373BC D3AD8C74 85D24950
	v_mfma_scale_f32_16x16x128_f8f6f4 a[120:123], v[84:87], v[32:35], a[120:123], v188, v185 op_sel_hi:[0,0,0] cbsz:4 blgp:4// 000000004CA0: D3AC6800 180373BC D3AD8C78 85E24154
	v_mfma_scale_f32_16x16x128_f8f6f4 a[124:127], v[84:87], v[36:39], a[124:127], v188, v185 op_sel_hi:[0,0,0] cbsz:4 blgp:4// 000000004CB0: D3AC7800 180373BC D3AD8C7C 85F24954
	s_waitcnt vmcnt(10)                                        // 000000004CC0: BF8C0F7A
	v_mfma_scale_f32_16x16x128_f8f6f4 a[16:19], v[88:91], v[8:11], a[16:19], v189, v184 op_sel_hi:[0,0,0] cbsz:4 blgp:4// 000000004CC4: D3AC6000 000371BD D3AD8C10 84421158
	buffer_load_dwordx4 v[136:139], v209, s[16:19], 0 offen    // 000000004CD4: E05C1000 800488D1
	v_mfma_scale_f32_16x16x128_f8f6f4 a[20:23], v[88:91], v[12:15], a[20:23], v189, v184 op_sel_hi:[0,0,0] cbsz:4 blgp:4// 000000004CDC: D3AC7000 000371BD D3AD8C14 84521958
	v_mfma_scale_f32_16x16x128_f8f6f4 a[24:27], v[92:95], v[8:11], a[24:27], v189, v184 op_sel_hi:[0,0,0] cbsz:4 blgp:4// 000000004CEC: D3AC6800 000371BD D3AD8C18 8462115C
	buffer_load_dwordx4 v[140:143], v210, s[16:19], 0 offen    // 000000004CFC: E05C1000 80048CD2
	v_mfma_scale_f32_16x16x128_f8f6f4 a[28:31], v[92:95], v[12:15], a[28:31], v189, v184 op_sel_hi:[0,0,0] cbsz:4 blgp:4// 000000004D04: D3AC7800 000371BD D3AD8C1C 8472195C
	v_mfma_scale_f32_16x16x128_f8f6f4 a[16:19], v[96:99], v[16:19], a[16:19], v189, v184 op_sel_hi:[0,0,0] cbsz:4 blgp:4// 000000004D14: D3AC6000 180371BD D3AD8C10 84422160
	buffer_load_dwordx4 v[144:147], v209, s[16:19], 0 offen offset:1024// 000000004D24: E05C1400 800490D1
	v_mfma_scale_f32_16x16x128_f8f6f4 a[20:23], v[96:99], v[20:23], a[20:23], v189, v184 op_sel_hi:[0,0,0] cbsz:4 blgp:4// 000000004D2C: D3AC7000 180371BD D3AD8C14 84522960
	v_mfma_scale_f32_16x16x128_f8f6f4 a[24:27], v[100:103], v[16:19], a[24:27], v189, v184 op_sel_hi:[0,0,0] cbsz:4 blgp:4// 000000004D3C: D3AC6800 180371BD D3AD8C18 84622164
	buffer_load_dwordx4 v[148:151], v210, s[16:19], 0 offen offset:1024// 000000004D4C: E05C1400 800494D2
	v_mfma_scale_f32_16x16x128_f8f6f4 a[28:31], v[100:103], v[20:23], a[28:31], v189, v184 op_sel_hi:[0,0,0] cbsz:4 blgp:4// 000000004D54: D3AC7800 180371BD D3AD8C1C 84722964
	v_mfma_scale_f32_16x16x128_f8f6f4 a[128:131], v[88:91], v[24:27], a[128:131], v189, v185 op_sel_hi:[0,0,0] cbsz:4 blgp:4// 000000004D64: D3AC6000 000373BD D3AD8C80 86023158
	buffer_load_dword v192, v219, s[24:27], 0 offen            // 000000004D74: E0501000 8006C0DB
	v_mfma_scale_f32_16x16x128_f8f6f4 a[132:135], v[88:91], v[28:31], a[132:135], v189, v185 op_sel_hi:[0,0,0] cbsz:4 blgp:4// 000000004D7C: D3AC7000 000373BD D3AD8C84 86123958
	v_mfma_scale_f32_16x16x128_f8f6f4 a[136:139], v[92:95], v[24:27], a[136:139], v189, v185 op_sel_hi:[0,0,0] cbsz:4 blgp:4// 000000004D8C: D3AC6800 000373BD D3AD8C88 8622315C
	v_mfma_scale_f32_16x16x128_f8f6f4 a[140:143], v[92:95], v[28:31], a[140:143], v189, v185 op_sel_hi:[0,0,0] cbsz:4 blgp:4// 000000004D9C: D3AC7800 000373BD D3AD8C8C 8632395C
	v_mfma_scale_f32_16x16x128_f8f6f4 a[128:131], v[96:99], v[32:35], a[128:131], v189, v185 op_sel_hi:[0,0,0] cbsz:4 blgp:4// 000000004DAC: D3AC6000 180373BD D3AD8C80 86024160
	v_mfma_scale_f32_16x16x128_f8f6f4 a[132:135], v[96:99], v[36:39], a[132:135], v189, v185 op_sel_hi:[0,0,0] cbsz:4 blgp:4// 000000004DBC: D3AC7000 180373BD D3AD8C84 86124960
	v_mfma_scale_f32_16x16x128_f8f6f4 a[136:139], v[100:103], v[32:35], a[136:139], v189, v185 op_sel_hi:[0,0,0] cbsz:4 blgp:4// 000000004DCC: D3AC6800 180373BD D3AD8C88 86224164
	v_mfma_scale_f32_16x16x128_f8f6f4 a[140:143], v[100:103], v[36:39], a[140:143], v189, v185 op_sel_hi:[0,0,0] cbsz:4 blgp:4// 000000004DDC: D3AC7800 180373BD D3AD8C8C 86324964
	s_waitcnt vmcnt(10)                                        // 000000004DEC: BF8C0F7A
	v_mfma_scale_f32_16x16x128_f8f6f4 a[32:35], v[104:107], v[8:11], a[32:35], v190, v184 op_sel_hi:[0,0,0] cbsz:4 blgp:4// 000000004DF0: D3AC6000 000371BE D3AD8C20 84821168
	buffer_load_dwordx4 v[152:155], v211, s[16:19], 0 offen    // 000000004E00: E05C1000 800498D3
	v_mfma_scale_f32_16x16x128_f8f6f4 a[36:39], v[104:107], v[12:15], a[36:39], v190, v184 op_sel_hi:[0,0,0] cbsz:4 blgp:4// 000000004E08: D3AC7000 000371BE D3AD8C24 84921968
	v_mfma_scale_f32_16x16x128_f8f6f4 a[40:43], v[108:111], v[8:11], a[40:43], v190, v184 op_sel_hi:[0,0,0] cbsz:4 blgp:4// 000000004E18: D3AC6800 000371BE D3AD8C28 84A2116C
	buffer_load_dwordx4 v[156:159], v212, s[16:19], 0 offen    // 000000004E28: E05C1000 80049CD4
	v_mfma_scale_f32_16x16x128_f8f6f4 a[44:47], v[108:111], v[12:15], a[44:47], v190, v184 op_sel_hi:[0,0,0] cbsz:4 blgp:4// 000000004E30: D3AC7800 000371BE D3AD8C2C 84B2196C
	v_mfma_scale_f32_16x16x128_f8f6f4 a[32:35], v[112:115], v[16:19], a[32:35], v190, v184 op_sel_hi:[0,0,0] cbsz:4 blgp:4// 000000004E40: D3AC6000 180371BE D3AD8C20 84822170
	buffer_load_dwordx4 v[160:163], v211, s[16:19], 0 offen offset:1024// 000000004E50: E05C1400 8004A0D3
	v_mfma_scale_f32_16x16x128_f8f6f4 a[36:39], v[112:115], v[20:23], a[36:39], v190, v184 op_sel_hi:[0,0,0] cbsz:4 blgp:4// 000000004E58: D3AC7000 180371BE D3AD8C24 84922970
	v_mfma_scale_f32_16x16x128_f8f6f4 a[40:43], v[116:119], v[16:19], a[40:43], v190, v184 op_sel_hi:[0,0,0] cbsz:4 blgp:4// 000000004E68: D3AC6800 180371BE D3AD8C28 84A22174
	buffer_load_dwordx4 v[164:167], v212, s[16:19], 0 offen offset:1024// 000000004E78: E05C1400 8004A4D4
	v_mfma_scale_f32_16x16x128_f8f6f4 a[44:47], v[116:119], v[20:23], a[44:47], v190, v184 op_sel_hi:[0,0,0] cbsz:4 blgp:4// 000000004E80: D3AC7800 180371BE D3AD8C2C 84B22974
	v_mfma_scale_f32_16x16x128_f8f6f4 a[144:147], v[104:107], v[24:27], a[144:147], v190, v185 op_sel_hi:[0,0,0] cbsz:4 blgp:4// 000000004E90: D3AC6000 000373BE D3AD8C90 86423168
	buffer_load_dword v193, v220, s[24:27], 0 offen            // 000000004EA0: E0501000 8006C1DC
	v_mfma_scale_f32_16x16x128_f8f6f4 a[148:151], v[104:107], v[28:31], a[148:151], v190, v185 op_sel_hi:[0,0,0] cbsz:4 blgp:4// 000000004EA8: D3AC7000 000373BE D3AD8C94 86523968
	v_mfma_scale_f32_16x16x128_f8f6f4 a[152:155], v[108:111], v[24:27], a[152:155], v190, v185 op_sel_hi:[0,0,0] cbsz:4 blgp:4// 000000004EB8: D3AC6800 000373BE D3AD8C98 8662316C
	v_mfma_scale_f32_16x16x128_f8f6f4 a[156:159], v[108:111], v[28:31], a[156:159], v190, v185 op_sel_hi:[0,0,0] cbsz:4 blgp:4// 000000004EC8: D3AC7800 000373BE D3AD8C9C 8672396C
	v_mfma_scale_f32_16x16x128_f8f6f4 a[144:147], v[112:115], v[32:35], a[144:147], v190, v185 op_sel_hi:[0,0,0] cbsz:4 blgp:4// 000000004ED8: D3AC6000 180373BE D3AD8C90 86424170
	v_mfma_scale_f32_16x16x128_f8f6f4 a[148:151], v[112:115], v[36:39], a[148:151], v190, v185 op_sel_hi:[0,0,0] cbsz:4 blgp:4// 000000004EE8: D3AC7000 180373BE D3AD8C94 86524970
	v_mfma_scale_f32_16x16x128_f8f6f4 a[152:155], v[116:119], v[32:35], a[152:155], v190, v185 op_sel_hi:[0,0,0] cbsz:4 blgp:4// 000000004EF8: D3AC6800 180373BE D3AD8C98 86624174
	v_mfma_scale_f32_16x16x128_f8f6f4 a[156:159], v[116:119], v[36:39], a[156:159], v190, v185 op_sel_hi:[0,0,0] cbsz:4 blgp:4// 000000004F08: D3AC7800 180373BE D3AD8C9C 86724974
	s_waitcnt vmcnt(10)                                        // 000000004F18: BF8C0F7A
	v_mfma_scale_f32_16x16x128_f8f6f4 a[48:51], v[120:123], v[8:11], a[48:51], v191, v184 op_sel_hi:[0,0,0] cbsz:4 blgp:4// 000000004F1C: D3AC6000 000371BF D3AD8C30 84C21178
	s_add_u32 s63, 0x100, s60                                  // 000000004F2C: 803F3CFF 00000100
	buffer_load_dwordx4 v[168:171], v213, s[16:19], 0 offen    // 000000004F34: E05C1000 8004A8D5
	v_mfma_scale_f32_16x16x128_f8f6f4 a[52:55], v[120:123], v[12:15], a[52:55], v191, v184 op_sel_hi:[0,0,0] cbsz:4 blgp:4// 000000004F3C: D3AC7000 000371BF D3AD8C34 84D21978
	s_cmp_lt_u32 s63, s61                                      // 000000004F4C: BF0A3D3F
	s_cselect_b32 s67, s67, 0                                  // 000000004F50: 85438043
	v_mfma_scale_f32_16x16x128_f8f6f4 a[56:59], v[124:127], v[8:11], a[56:59], v191, v184 op_sel_hi:[0,0,0] cbsz:4 blgp:4// 000000004F54: D3AC6800 000371BF D3AD8C38 84E2117C
	s_cselect_b32 s69, s69, 0                                  // 000000004F64: 85458045
	buffer_load_dwordx4 v[172:175], v214, s[16:19], 0 offen    // 000000004F68: E05C1000 8004ACD6
	v_mfma_scale_f32_16x16x128_f8f6f4 a[60:63], v[124:127], v[12:15], a[60:63], v191, v184 op_sel_hi:[0,0,0] cbsz:4 blgp:4// 000000004F70: D3AC7800 000371BF D3AD8C3C 84F2197C
	v_mfma_scale_f32_16x16x128_f8f6f4 a[48:51], v[128:131], v[16:19], a[48:51], v191, v184 op_sel_hi:[0,0,0] cbsz:4 blgp:4// 000000004F80: D3AC6000 180371BF D3AD8C30 84C22180
	buffer_load_dwordx4 v[176:179], v213, s[16:19], 0 offen offset:1024// 000000004F90: E05C1400 8004B0D5
	v_mfma_scale_f32_16x16x128_f8f6f4 a[52:55], v[128:131], v[20:23], a[52:55], v191, v184 op_sel_hi:[0,0,0] cbsz:4 blgp:4// 000000004F98: D3AC7000 180371BF D3AD8C34 84D22980
	v_mfma_scale_f32_16x16x128_f8f6f4 a[56:59], v[132:135], v[16:19], a[56:59], v191, v184 op_sel_hi:[0,0,0] cbsz:4 blgp:4// 000000004FA8: D3AC6800 180371BF D3AD8C38 84E22184
	buffer_load_dwordx4 v[180:183], v214, s[16:19], 0 offen offset:1024// 000000004FB8: E05C1400 8004B4D6
	v_mfma_scale_f32_16x16x128_f8f6f4 a[60:63], v[132:135], v[20:23], a[60:63], v191, v184 op_sel_hi:[0,0,0] cbsz:4 blgp:4// 000000004FC0: D3AC7800 180371BF D3AD8C3C 84F22984
	v_mfma_scale_f32_16x16x128_f8f6f4 a[160:163], v[120:123], v[24:27], a[160:163], v191, v185 op_sel_hi:[0,0,0] cbsz:4 blgp:4// 000000004FD0: D3AC6000 000373BF D3AD8CA0 86823178
	buffer_load_dword v194, v221, s[24:27], 0 offen            // 000000004FE0: E0501000 8006C2DD
	v_mfma_scale_f32_16x16x128_f8f6f4 a[164:167], v[120:123], v[28:31], a[164:167], v191, v185 op_sel_hi:[0,0,0] cbsz:4 blgp:4// 000000004FE8: D3AC7000 000373BF D3AD8CA4 86923978
	s_add_u32 s16, s16, s67                                    // 000000004FF8: 80104310
	s_addc_u32 s17, 0, s17                                     // 000000004FFC: 82111180
	v_mfma_scale_f32_16x16x128_f8f6f4 a[168:171], v[124:127], v[24:27], a[168:171], v191, v185 op_sel_hi:[0,0,0] cbsz:4 blgp:4// 000000005000: D3AC6800 000373BF D3AD8CA8 86A2317C
	s_sub_u32 s18, s18, s67                                    // 000000005010: 80924312
	s_add_u32 s24, s24, s69                                    // 000000005014: 80184518
	v_mfma_scale_f32_16x16x128_f8f6f4 a[172:175], v[124:127], v[28:31], a[172:175], v191, v185 op_sel_hi:[0,0,0] cbsz:4 blgp:4// 000000005018: D3AC7800 000373BF D3AD8CAC 86B2397C
	s_addc_u32 s25, 0, s25                                     // 000000005028: 82191980
	s_sub_u32 s26, s26, s69                                    // 00000000502C: 809A451A
	v_mfma_scale_f32_16x16x128_f8f6f4 a[160:163], v[128:131], v[32:35], a[160:163], v191, v185 op_sel_hi:[0,0,0] cbsz:4 blgp:4// 000000005030: D3AC6000 180373BF D3AD8CA0 86824180
	s_add_u32 m0, 0x400, s65                                   // 000000005040: 807C41FF 00000400
	buffer_load_dword v199, s[20:23], 0 offen lds              // 000000005048: E0511000 800500C7
	v_mfma_scale_f32_16x16x128_f8f6f4 a[164:167], v[128:131], v[36:39], a[164:167], v191, v185 op_sel_hi:[0,0,0] cbsz:4 blgp:4// 000000005050: D3AC7000 180373BF D3AD8CA4 86924980
	v_mfma_scale_f32_16x16x128_f8f6f4 a[168:171], v[132:135], v[32:35], a[168:171], v191, v185 op_sel_hi:[0,0,0] cbsz:4 blgp:4// 000000005060: D3AC6800 180373BF D3AD8CA8 86A24184
	v_mfma_scale_f32_16x16x128_f8f6f4 a[172:175], v[132:135], v[36:39], a[172:175], v191, v185 op_sel_hi:[0,0,0] cbsz:4 blgp:4// 000000005070: D3AC7800 180373BF D3AD8CAC 86B24984
	s_waitcnt vmcnt(11)                                        // 000000005080: BF8C0F7B
	v_mfma_scale_f32_16x16x128_f8f6f4 a[64:67], v[136:139], v[8:11], a[64:67], v192, v184 op_sel_hi:[0,0,0] cbsz:4 blgp:4// 000000005084: D3AC6000 000371C0 D3AD8C40 85021188
	s_add_u32 m0, 0x2100, s64                                  // 000000005094: 807C40FF 00002100
	buffer_load_dwordx4 v195, s[12:15], 0 offen lds            // 00000000509C: E05D1000 800300C3
	v_mfma_scale_f32_16x16x128_f8f6f4 a[68:71], v[136:139], v[12:15], a[68:71], v192, v184 op_sel_hi:[0,0,0] cbsz:4 blgp:4// 0000000050A4: D3AC7000 000371C0 D3AD8C44 85121988
	v_mfma_scale_f32_16x16x128_f8f6f4 a[72:75], v[140:143], v[8:11], a[72:75], v192, v184 op_sel_hi:[0,0,0] cbsz:4 blgp:4// 0000000050B4: D3AC6800 000371C0 D3AD8C48 8522118C
	s_add_u32 m0, 0x3180, s64                                  // 0000000050C4: 807C40FF 00003180
	buffer_load_dwordx4 v196, s[12:15], 0 offen lds            // 0000000050CC: E05D1000 800300C4
	v_mfma_scale_f32_16x16x128_f8f6f4 a[76:79], v[140:143], v[12:15], a[76:79], v192, v184 op_sel_hi:[0,0,0] cbsz:4 blgp:4// 0000000050D4: D3AC7800 000371C0 D3AD8C4C 8532198C
	s_add_u32 s62, 0x200, s60                                  // 0000000050E4: 803E3CFF 00000200
	s_cmp_lt_u32 s62, s61                                      // 0000000050EC: BF0A3D3E
	v_mfma_scale_f32_16x16x128_f8f6f4 a[64:67], v[144:147], v[16:19], a[64:67], v192, v184 op_sel_hi:[0,0,0] cbsz:4 blgp:4// 0000000050F0: D3AC6000 180371C0 D3AD8C40 85022190
	s_cselect_b32 s66, s66, 0                                  // 000000005100: 85428042
	buffer_load_dwordx4 v[72:75], v201, s[16:19], 0 offen      // 000000005104: E05C1000 800448C9
	v_mfma_scale_f32_16x16x128_f8f6f4 a[68:71], v[144:147], v[20:23], a[68:71], v192, v184 op_sel_hi:[0,0,0] cbsz:4 blgp:4// 00000000510C: D3AC7000 180371C0 D3AD8C44 85122990
	s_cselect_b32 s68, s68, 0                                  // 00000000511C: 85448044
	s_add_u32 s12, s12, s66                                    // 000000005120: 800C420C
	v_mfma_scale_f32_16x16x128_f8f6f4 a[72:75], v[148:151], v[16:19], a[72:75], v192, v184 op_sel_hi:[0,0,0] cbsz:4 blgp:4// 000000005124: D3AC6800 180371C0 D3AD8C48 85222194
	s_addc_u32 s13, 0, s13                                     // 000000005134: 820D0D80
	buffer_load_dwordx4 v[76:79], v202, s[16:19], 0 offen      // 000000005138: E05C1000 80044CCA
	v_mfma_scale_f32_16x16x128_f8f6f4 a[76:79], v[148:151], v[20:23], a[76:79], v192, v184 op_sel_hi:[0,0,0] cbsz:4 blgp:4// 000000005140: D3AC7800 180371C0 D3AD8C4C 85322994
	s_sub_u32 s14, s14, s66                                    // 000000005150: 808E420E
	s_add_u32 s20, s20, s68                                    // 000000005154: 80144414
	v_mfma_scale_f32_16x16x128_f8f6f4 a[176:179], v[136:139], v[24:27], a[176:179], v192, v185 op_sel_hi:[0,0,0] cbsz:4 blgp:4// 000000005158: D3AC6000 000373C0 D3AD8CB0 86C23188
	s_addc_u32 s21, 0, s21                                     // 000000005168: 82151580
	buffer_load_dwordx4 v[80:83], v201, s[16:19], 0 offen offset:1024// 00000000516C: E05C1400 800450C9
	v_mfma_scale_f32_16x16x128_f8f6f4 a[180:183], v[136:139], v[28:31], a[180:183], v192, v185 op_sel_hi:[0,0,0] cbsz:4 blgp:4// 000000005174: D3AC7000 000373C0 D3AD8CB4 86D23988
	s_sub_u32 s22, s22, s68                                    // 000000005184: 80964416
	v_mfma_scale_f32_16x16x128_f8f6f4 a[184:187], v[140:143], v[24:27], a[184:187], v192, v185 op_sel_hi:[0,0,0] cbsz:4 blgp:4// 000000005188: D3AC6800 000373C0 D3AD8CB8 86E2318C
	buffer_load_dwordx4 v[84:87], v202, s[16:19], 0 offen offset:1024// 000000005198: E05C1400 800454CA
	v_mfma_scale_f32_16x16x128_f8f6f4 a[188:191], v[140:143], v[28:31], a[188:191], v192, v185 op_sel_hi:[0,0,0] cbsz:4 blgp:4// 0000000051A0: D3AC7800 000373C0 D3AD8CBC 86F2398C
	v_mfma_scale_f32_16x16x128_f8f6f4 a[176:179], v[144:147], v[32:35], a[176:179], v192, v185 op_sel_hi:[0,0,0] cbsz:4 blgp:4// 0000000051B0: D3AC6000 180373C0 D3AD8CB0 86C24190
	buffer_load_dword v188, v215, s[24:27], 0 offen            // 0000000051C0: E0501000 8006BCD7
	v_mfma_scale_f32_16x16x128_f8f6f4 a[180:183], v[144:147], v[36:39], a[180:183], v192, v185 op_sel_hi:[0,0,0] cbsz:4 blgp:4// 0000000051C8: D3AC7000 180373C0 D3AD8CB4 86D24990
	v_mfma_scale_f32_16x16x128_f8f6f4 a[184:187], v[148:151], v[32:35], a[184:187], v192, v185 op_sel_hi:[0,0,0] cbsz:4 blgp:4// 0000000051D8: D3AC6800 180373C0 D3AD8CB8 86E24194
	v_mfma_scale_f32_16x16x128_f8f6f4 a[188:191], v[148:151], v[36:39], a[188:191], v192, v185 op_sel_hi:[0,0,0] cbsz:4 blgp:4// 0000000051E8: D3AC7800 180373C0 D3AD8CBC 86F24994
	s_waitcnt vmcnt(13)                                        // 0000000051F8: BF8C0F7D
	v_mfma_scale_f32_16x16x128_f8f6f4 a[80:83], v[152:155], v[8:11], a[80:83], v193, v184 op_sel_hi:[0,0,0] cbsz:4 blgp:4// 0000000051FC: D3AC6000 000371C1 D3AD8C50 85421198
	buffer_load_dwordx4 v[88:91], v203, s[16:19], 0 offen      // 00000000520C: E05C1000 800458CB
	v_mfma_scale_f32_16x16x128_f8f6f4 a[84:87], v[152:155], v[12:15], a[84:87], v193, v184 op_sel_hi:[0,0,0] cbsz:4 blgp:4// 000000005214: D3AC7000 000371C1 D3AD8C54 85521998
	v_mfma_scale_f32_16x16x128_f8f6f4 a[88:91], v[156:159], v[8:11], a[88:91], v193, v184 op_sel_hi:[0,0,0] cbsz:4 blgp:4// 000000005224: D3AC6800 000371C1 D3AD8C58 8562119C
	buffer_load_dwordx4 v[92:95], v204, s[16:19], 0 offen      // 000000005234: E05C1000 80045CCC
	v_mfma_scale_f32_16x16x128_f8f6f4 a[92:95], v[156:159], v[12:15], a[92:95], v193, v184 op_sel_hi:[0,0,0] cbsz:4 blgp:4// 00000000523C: D3AC7800 000371C1 D3AD8C5C 8572199C
	v_mfma_scale_f32_16x16x128_f8f6f4 a[80:83], v[160:163], v[16:19], a[80:83], v193, v184 op_sel_hi:[0,0,0] cbsz:4 blgp:4// 00000000524C: D3AC6000 180371C1 D3AD8C50 854221A0
	buffer_load_dwordx4 v[96:99], v203, s[16:19], 0 offen offset:1024// 00000000525C: E05C1400 800460CB
	v_mfma_scale_f32_16x16x128_f8f6f4 a[84:87], v[160:163], v[20:23], a[84:87], v193, v184 op_sel_hi:[0,0,0] cbsz:4 blgp:4// 000000005264: D3AC7000 180371C1 D3AD8C54 855229A0
	v_mfma_scale_f32_16x16x128_f8f6f4 a[88:91], v[164:167], v[16:19], a[88:91], v193, v184 op_sel_hi:[0,0,0] cbsz:4 blgp:4// 000000005274: D3AC6800 180371C1 D3AD8C58 856221A4
	buffer_load_dwordx4 v[100:103], v204, s[16:19], 0 offen offset:1024// 000000005284: E05C1400 800464CC
	v_mfma_scale_f32_16x16x128_f8f6f4 a[92:95], v[164:167], v[20:23], a[92:95], v193, v184 op_sel_hi:[0,0,0] cbsz:4 blgp:4// 00000000528C: D3AC7800 180371C1 D3AD8C5C 857229A4
	v_mfma_scale_f32_16x16x128_f8f6f4 a[192:195], v[152:155], v[24:27], a[192:195], v193, v185 op_sel_hi:[0,0,0] cbsz:4 blgp:4// 00000000529C: D3AC6000 000373C1 D3AD8CC0 87023198
	buffer_load_dword v189, v216, s[24:27], 0 offen            // 0000000052AC: E0501000 8006BDD8
	v_mfma_scale_f32_16x16x128_f8f6f4 a[196:199], v[152:155], v[28:31], a[196:199], v193, v185 op_sel_hi:[0,0,0] cbsz:4 blgp:4// 0000000052B4: D3AC7000 000373C1 D3AD8CC4 87123998
	v_mfma_scale_f32_16x16x128_f8f6f4 a[200:203], v[156:159], v[24:27], a[200:203], v193, v185 op_sel_hi:[0,0,0] cbsz:4 blgp:4// 0000000052C4: D3AC6800 000373C1 D3AD8CC8 8722319C
	v_mfma_scale_f32_16x16x128_f8f6f4 a[204:207], v[156:159], v[28:31], a[204:207], v193, v185 op_sel_hi:[0,0,0] cbsz:4 blgp:4// 0000000052D4: D3AC7800 000373C1 D3AD8CCC 8732399C
	v_mfma_scale_f32_16x16x128_f8f6f4 a[192:195], v[160:163], v[32:35], a[192:195], v193, v185 op_sel_hi:[0,0,0] cbsz:4 blgp:4// 0000000052E4: D3AC6000 180373C1 D3AD8CC0 870241A0
	v_mfma_scale_f32_16x16x128_f8f6f4 a[196:199], v[160:163], v[36:39], a[196:199], v193, v185 op_sel_hi:[0,0,0] cbsz:4 blgp:4// 0000000052F4: D3AC7000 180373C1 D3AD8CC4 871249A0
	v_mfma_scale_f32_16x16x128_f8f6f4 a[200:203], v[164:167], v[32:35], a[200:203], v193, v185 op_sel_hi:[0,0,0] cbsz:4 blgp:4// 000000005304: D3AC6800 180373C1 D3AD8CC8 872241A4
	v_mfma_scale_f32_16x16x128_f8f6f4 a[204:207], v[164:167], v[36:39], a[204:207], v193, v185 op_sel_hi:[0,0,0] cbsz:4 blgp:4// 000000005314: D3AC7800 180373C1 D3AD8CCC 873249A4
	s_waitcnt vmcnt(10)                                        // 000000005324: BF8C0F7A
	s_barrier                                                  // 000000005328: BF8A0000
	v_mfma_scale_f32_16x16x128_f8f6f4 a[96:99], v[168:171], v[8:11], a[96:99], v194, v184 op_sel_hi:[0,0,0] cbsz:4 blgp:4// 00000000532C: D3AC6000 000371C2 D3AD8C60 858211A8
	s_addk_i32 s60, 0x100                                      // 00000000533C: B73C0100
	buffer_load_dwordx4 v[104:107], v205, s[16:19], 0 offen    // 000000005340: E05C1000 800468CD
	v_mfma_scale_f32_16x16x128_f8f6f4 a[100:103], v[168:171], v[12:15], a[100:103], v194, v184 op_sel_hi:[0,0,0] cbsz:4 blgp:4// 000000005348: D3AC7000 000371C2 D3AD8C64 859219A8
	s_cmp_lt_i32 s60, s61                                      // 000000005358: BF043D3C
	ds_read_b128 v[40:43], v198                                // 00000000535C: D9FE0000 280000C6
	v_mfma_scale_f32_16x16x128_f8f6f4 a[104:107], v[172:175], v[8:11], a[104:107], v194, v184 op_sel_hi:[0,0,0] cbsz:4 blgp:4// 000000005364: D3AC6800 000371C2 D3AD8C68 85A211AC
	buffer_load_dwordx4 v[108:111], v206, s[16:19], 0 offen    // 000000005374: E05C1000 80046CCE
	v_mfma_scale_f32_16x16x128_f8f6f4 a[108:111], v[172:175], v[12:15], a[108:111], v194, v184 op_sel_hi:[0,0,0] cbsz:4 blgp:4// 00000000537C: D3AC7800 000371C2 D3AD8C6C 85B219AC
	ds_read_b128 v[48:51], v198 offset:64                      // 00000000538C: D9FE0040 300000C6
	v_mfma_scale_f32_16x16x128_f8f6f4 a[96:99], v[176:179], v[16:19], a[96:99], v194, v184 op_sel_hi:[0,0,0] cbsz:4 blgp:4// 000000005394: D3AC6000 180371C2 D3AD8C60 858221B0
	buffer_load_dwordx4 v[112:115], v205, s[16:19], 0 offen offset:1024// 0000000053A4: E05C1400 800470CD
	v_mfma_scale_f32_16x16x128_f8f6f4 a[100:103], v[176:179], v[20:23], a[100:103], v194, v184 op_sel_hi:[0,0,0] cbsz:4 blgp:4// 0000000053AC: D3AC7000 180371C2 D3AD8C64 859229B0
	ds_read_b128 v[44:47], v198 offset:512                     // 0000000053BC: D9FE0200 2C0000C6
	v_mfma_scale_f32_16x16x128_f8f6f4 a[104:107], v[180:183], v[16:19], a[104:107], v194, v184 op_sel_hi:[0,0,0] cbsz:4 blgp:4// 0000000053C4: D3AC6800 180371C2 D3AD8C68 85A221B4
	buffer_load_dwordx4 v[116:119], v206, s[16:19], 0 offen offset:1024// 0000000053D4: E05C1400 800474CE
	v_mfma_scale_f32_16x16x128_f8f6f4 a[108:111], v[180:183], v[20:23], a[108:111], v194, v184 op_sel_hi:[0,0,0] cbsz:4 blgp:4// 0000000053DC: D3AC7800 180371C2 D3AD8C6C 85B229B4
	ds_read_b128 v[52:55], v198 offset:576                     // 0000000053EC: D9FE0240 340000C6
	ds_read_b32 v186, v200 offset:1024                         // 0000000053F4: D86C0400 BA0000C8
	v_mfma_scale_f32_16x16x128_f8f6f4 a[208:211], v[168:171], v[24:27], a[208:211], v194, v185 op_sel_hi:[0,0,0] cbsz:4 blgp:4// 0000000053FC: D3AC6000 000373C2 D3AD8CD0 874231A8
	buffer_load_dword v190, v217, s[24:27], 0 offen            // 00000000540C: E0501000 8006BED9
	v_mfma_scale_f32_16x16x128_f8f6f4 a[212:215], v[168:171], v[28:31], a[212:215], v194, v185 op_sel_hi:[0,0,0] cbsz:4 blgp:4// 000000005414: D3AC7000 000373C2 D3AD8CD4 875239A8
	ds_read_b128 v[56:59], v198 offset:4224                    // 000000005424: D9FE1080 380000C6
	v_mfma_scale_f32_16x16x128_f8f6f4 a[216:219], v[172:175], v[24:27], a[216:219], v194, v185 op_sel_hi:[0,0,0] cbsz:4 blgp:4// 00000000542C: D3AC6800 000373C2 D3AD8CD8 876231AC
	v_mfma_scale_f32_16x16x128_f8f6f4 a[220:223], v[172:175], v[28:31], a[220:223], v194, v185 op_sel_hi:[0,0,0] cbsz:4 blgp:4// 00000000543C: D3AC7800 000373C2 D3AD8CDC 877239AC
	ds_read_b128 v[64:67], v198 offset:4288                    // 00000000544C: D9FE10C0 400000C6
	v_mfma_scale_f32_16x16x128_f8f6f4 a[208:211], v[176:179], v[32:35], a[208:211], v194, v185 op_sel_hi:[0,0,0] cbsz:4 blgp:4// 000000005454: D3AC6000 180373C2 D3AD8CD0 874241B0
	v_mfma_scale_f32_16x16x128_f8f6f4 a[212:215], v[176:179], v[36:39], a[212:215], v194, v185 op_sel_hi:[0,0,0] cbsz:4 blgp:4// 000000005464: D3AC7000 180373C2 D3AD8CD4 875249B0
	ds_read_b128 v[60:63], v198 offset:4736                    // 000000005474: D9FE1280 3C0000C6
	v_mfma_scale_f32_16x16x128_f8f6f4 a[216:219], v[180:183], v[32:35], a[216:219], v194, v185 op_sel_hi:[0,0,0] cbsz:4 blgp:4// 00000000547C: D3AC6800 180373C2 D3AD8CD8 876241B4
	v_mfma_scale_f32_16x16x128_f8f6f4 a[220:223], v[180:183], v[36:39], a[220:223], v194, v185 op_sel_hi:[0,0,0] cbsz:4 blgp:4// 00000000548C: D3AC7800 180373C2 D3AD8CDC 877249B4
	ds_read_b128 v[68:71], v198 offset:4800                    // 00000000549C: D9FE12C0 440000C6
	ds_read_b32 v187, v200 offset:1280                         // 0000000054A4: D86C0500 BB0000C8
	s_cbranch_scc0 label_0C73                                  // 0000000054AC: BF840247
	s_waitcnt vmcnt(10) lgkmcnt(5)                             // 0000000054B0: BF8C057A
	v_mfma_scale_f32_16x16x128_f8f6f4 a[0:3], v[72:75], v[40:43], a[0:3], v188, v186 op_sel_hi:[0,0,0] cbsz:4 blgp:4// 0000000054B4: D3AC6000 000375BC D3AD8C00 84025148
	buffer_load_dwordx4 v[120:123], v207, s[16:19], 0 offen    // 0000000054C4: E05C1000 800478CF
	v_mfma_scale_f32_16x16x128_f8f6f4 a[4:7], v[72:75], v[44:47], a[4:7], v188, v186 op_sel_hi:[0,0,0] cbsz:4 blgp:4// 0000000054CC: D3AC7000 000375BC D3AD8C04 84125948
	v_mfma_scale_f32_16x16x128_f8f6f4 a[8:11], v[76:79], v[40:43], a[8:11], v188, v186 op_sel_hi:[0,0,0] cbsz:4 blgp:4// 0000000054DC: D3AC6800 000375BC D3AD8C08 8422514C
	buffer_load_dwordx4 v[124:127], v208, s[16:19], 0 offen    // 0000000054EC: E05C1000 80047CD0
	v_mfma_scale_f32_16x16x128_f8f6f4 a[12:15], v[76:79], v[44:47], a[12:15], v188, v186 op_sel_hi:[0,0,0] cbsz:4 blgp:4// 0000000054F4: D3AC7800 000375BC D3AD8C0C 8432594C
	v_mfma_scale_f32_16x16x128_f8f6f4 a[0:3], v[80:83], v[48:51], a[0:3], v188, v186 op_sel_hi:[0,0,0] cbsz:4 blgp:4// 000000005504: D3AC6000 180375BC D3AD8C00 84026150
	buffer_load_dwordx4 v[128:131], v207, s[16:19], 0 offen offset:1024// 000000005514: E05C1400 800480CF
	v_mfma_scale_f32_16x16x128_f8f6f4 a[4:7], v[80:83], v[52:55], a[4:7], v188, v186 op_sel_hi:[0,0,0] cbsz:4 blgp:4// 00000000551C: D3AC7000 180375BC D3AD8C04 84126950
	v_mfma_scale_f32_16x16x128_f8f6f4 a[8:11], v[84:87], v[48:51], a[8:11], v188, v186 op_sel_hi:[0,0,0] cbsz:4 blgp:4// 00000000552C: D3AC6800 180375BC D3AD8C08 84226154
	buffer_load_dwordx4 v[132:135], v208, s[16:19], 0 offen offset:1024// 00000000553C: E05C1400 800484D0
	v_mfma_scale_f32_16x16x128_f8f6f4 a[12:15], v[84:87], v[52:55], a[12:15], v188, v186 op_sel_hi:[0,0,0] cbsz:4 blgp:4// 000000005544: D3AC7800 180375BC D3AD8C0C 84326954
	s_waitcnt lgkmcnt(0)                                       // 000000005554: BF8CC07F
	v_mfma_scale_f32_16x16x128_f8f6f4 a[112:115], v[72:75], v[56:59], a[112:115], v188, v187 op_sel_hi:[0,0,0] cbsz:4 blgp:4// 000000005558: D3AC6000 000377BC D3AD8C70 85C27148
	buffer_load_dword v191, v218, s[24:27], 0 offen            // 000000005568: E0501000 8006BFDA
	v_mfma_scale_f32_16x16x128_f8f6f4 a[116:119], v[72:75], v[60:63], a[116:119], v188, v187 op_sel_hi:[0,0,0] cbsz:4 blgp:4// 000000005570: D3AC7000 000377BC D3AD8C74 85D27948
	v_mfma_scale_f32_16x16x128_f8f6f4 a[120:123], v[76:79], v[56:59], a[120:123], v188, v187 op_sel_hi:[0,0,0] cbsz:4 blgp:4// 000000005580: D3AC6800 000377BC D3AD8C78 85E2714C
	v_mfma_scale_f32_16x16x128_f8f6f4 a[124:127], v[76:79], v[60:63], a[124:127], v188, v187 op_sel_hi:[0,0,0] cbsz:4 blgp:4// 000000005590: D3AC7800 000377BC D3AD8C7C 85F2794C
	v_mfma_scale_f32_16x16x128_f8f6f4 a[112:115], v[80:83], v[64:67], a[112:115], v188, v187 op_sel_hi:[0,0,0] cbsz:4 blgp:4// 0000000055A0: D3AC6000 180377BC D3AD8C70 85C28150
	v_mfma_scale_f32_16x16x128_f8f6f4 a[116:119], v[80:83], v[68:71], a[116:119], v188, v187 op_sel_hi:[0,0,0] cbsz:4 blgp:4// 0000000055B0: D3AC7000 180377BC D3AD8C74 85D28950
	v_mfma_scale_f32_16x16x128_f8f6f4 a[120:123], v[84:87], v[64:67], a[120:123], v188, v187 op_sel_hi:[0,0,0] cbsz:4 blgp:4// 0000000055C0: D3AC6800 180377BC D3AD8C78 85E28154
	v_mfma_scale_f32_16x16x128_f8f6f4 a[124:127], v[84:87], v[68:71], a[124:127], v188, v187 op_sel_hi:[0,0,0] cbsz:4 blgp:4// 0000000055D0: D3AC7800 180377BC D3AD8C7C 85F28954
	s_waitcnt vmcnt(10)                                        // 0000000055E0: BF8C0F7A
	v_mfma_scale_f32_16x16x128_f8f6f4 a[16:19], v[88:91], v[40:43], a[16:19], v189, v186 op_sel_hi:[0,0,0] cbsz:4 blgp:4// 0000000055E4: D3AC6000 000375BD D3AD8C10 84425158
	buffer_load_dwordx4 v[136:139], v209, s[16:19], 0 offen    // 0000000055F4: E05C1000 800488D1
	v_mfma_scale_f32_16x16x128_f8f6f4 a[20:23], v[88:91], v[44:47], a[20:23], v189, v186 op_sel_hi:[0,0,0] cbsz:4 blgp:4// 0000000055FC: D3AC7000 000375BD D3AD8C14 84525958
	v_mfma_scale_f32_16x16x128_f8f6f4 a[24:27], v[92:95], v[40:43], a[24:27], v189, v186 op_sel_hi:[0,0,0] cbsz:4 blgp:4// 00000000560C: D3AC6800 000375BD D3AD8C18 8462515C
	buffer_load_dwordx4 v[140:143], v210, s[16:19], 0 offen    // 00000000561C: E05C1000 80048CD2
	v_mfma_scale_f32_16x16x128_f8f6f4 a[28:31], v[92:95], v[44:47], a[28:31], v189, v186 op_sel_hi:[0,0,0] cbsz:4 blgp:4// 000000005624: D3AC7800 000375BD D3AD8C1C 8472595C
	v_mfma_scale_f32_16x16x128_f8f6f4 a[16:19], v[96:99], v[48:51], a[16:19], v189, v186 op_sel_hi:[0,0,0] cbsz:4 blgp:4// 000000005634: D3AC6000 180375BD D3AD8C10 84426160
	buffer_load_dwordx4 v[144:147], v209, s[16:19], 0 offen offset:1024// 000000005644: E05C1400 800490D1
	v_mfma_scale_f32_16x16x128_f8f6f4 a[20:23], v[96:99], v[52:55], a[20:23], v189, v186 op_sel_hi:[0,0,0] cbsz:4 blgp:4// 00000000564C: D3AC7000 180375BD D3AD8C14 84526960
	v_mfma_scale_f32_16x16x128_f8f6f4 a[24:27], v[100:103], v[48:51], a[24:27], v189, v186 op_sel_hi:[0,0,0] cbsz:4 blgp:4// 00000000565C: D3AC6800 180375BD D3AD8C18 84626164
	buffer_load_dwordx4 v[148:151], v210, s[16:19], 0 offen offset:1024// 00000000566C: E05C1400 800494D2
	v_mfma_scale_f32_16x16x128_f8f6f4 a[28:31], v[100:103], v[52:55], a[28:31], v189, v186 op_sel_hi:[0,0,0] cbsz:4 blgp:4// 000000005674: D3AC7800 180375BD D3AD8C1C 84726964
	v_mfma_scale_f32_16x16x128_f8f6f4 a[128:131], v[88:91], v[56:59], a[128:131], v189, v187 op_sel_hi:[0,0,0] cbsz:4 blgp:4// 000000005684: D3AC6000 000377BD D3AD8C80 86027158
	buffer_load_dword v192, v219, s[24:27], 0 offen            // 000000005694: E0501000 8006C0DB
	v_mfma_scale_f32_16x16x128_f8f6f4 a[132:135], v[88:91], v[60:63], a[132:135], v189, v187 op_sel_hi:[0,0,0] cbsz:4 blgp:4// 00000000569C: D3AC7000 000377BD D3AD8C84 86127958
	v_mfma_scale_f32_16x16x128_f8f6f4 a[136:139], v[92:95], v[56:59], a[136:139], v189, v187 op_sel_hi:[0,0,0] cbsz:4 blgp:4// 0000000056AC: D3AC6800 000377BD D3AD8C88 8622715C
	v_mfma_scale_f32_16x16x128_f8f6f4 a[140:143], v[92:95], v[60:63], a[140:143], v189, v187 op_sel_hi:[0,0,0] cbsz:4 blgp:4// 0000000056BC: D3AC7800 000377BD D3AD8C8C 8632795C
	v_mfma_scale_f32_16x16x128_f8f6f4 a[128:131], v[96:99], v[64:67], a[128:131], v189, v187 op_sel_hi:[0,0,0] cbsz:4 blgp:4// 0000000056CC: D3AC6000 180377BD D3AD8C80 86028160
	v_mfma_scale_f32_16x16x128_f8f6f4 a[132:135], v[96:99], v[68:71], a[132:135], v189, v187 op_sel_hi:[0,0,0] cbsz:4 blgp:4// 0000000056DC: D3AC7000 180377BD D3AD8C84 86128960
	v_mfma_scale_f32_16x16x128_f8f6f4 a[136:139], v[100:103], v[64:67], a[136:139], v189, v187 op_sel_hi:[0,0,0] cbsz:4 blgp:4// 0000000056EC: D3AC6800 180377BD D3AD8C88 86228164
	v_mfma_scale_f32_16x16x128_f8f6f4 a[140:143], v[100:103], v[68:71], a[140:143], v189, v187 op_sel_hi:[0,0,0] cbsz:4 blgp:4// 0000000056FC: D3AC7800 180377BD D3AD8C8C 86328964
	s_waitcnt vmcnt(10)                                        // 00000000570C: BF8C0F7A
	v_mfma_scale_f32_16x16x128_f8f6f4 a[32:35], v[104:107], v[40:43], a[32:35], v190, v186 op_sel_hi:[0,0,0] cbsz:4 blgp:4// 000000005710: D3AC6000 000375BE D3AD8C20 84825168
	buffer_load_dwordx4 v[152:155], v211, s[16:19], 0 offen    // 000000005720: E05C1000 800498D3
	v_mfma_scale_f32_16x16x128_f8f6f4 a[36:39], v[104:107], v[44:47], a[36:39], v190, v186 op_sel_hi:[0,0,0] cbsz:4 blgp:4// 000000005728: D3AC7000 000375BE D3AD8C24 84925968
	v_mfma_scale_f32_16x16x128_f8f6f4 a[40:43], v[108:111], v[40:43], a[40:43], v190, v186 op_sel_hi:[0,0,0] cbsz:4 blgp:4// 000000005738: D3AC6800 000375BE D3AD8C28 84A2516C
	buffer_load_dwordx4 v[156:159], v212, s[16:19], 0 offen    // 000000005748: E05C1000 80049CD4
	v_mfma_scale_f32_16x16x128_f8f6f4 a[44:47], v[108:111], v[44:47], a[44:47], v190, v186 op_sel_hi:[0,0,0] cbsz:4 blgp:4// 000000005750: D3AC7800 000375BE D3AD8C2C 84B2596C
	v_mfma_scale_f32_16x16x128_f8f6f4 a[32:35], v[112:115], v[48:51], a[32:35], v190, v186 op_sel_hi:[0,0,0] cbsz:4 blgp:4// 000000005760: D3AC6000 180375BE D3AD8C20 84826170
	buffer_load_dwordx4 v[160:163], v211, s[16:19], 0 offen offset:1024// 000000005770: E05C1400 8004A0D3
	v_mfma_scale_f32_16x16x128_f8f6f4 a[36:39], v[112:115], v[52:55], a[36:39], v190, v186 op_sel_hi:[0,0,0] cbsz:4 blgp:4// 000000005778: D3AC7000 180375BE D3AD8C24 84926970
	v_mfma_scale_f32_16x16x128_f8f6f4 a[40:43], v[116:119], v[48:51], a[40:43], v190, v186 op_sel_hi:[0,0,0] cbsz:4 blgp:4// 000000005788: D3AC6800 180375BE D3AD8C28 84A26174
	buffer_load_dwordx4 v[164:167], v212, s[16:19], 0 offen offset:1024// 000000005798: E05C1400 8004A4D4
	v_mfma_scale_f32_16x16x128_f8f6f4 a[44:47], v[116:119], v[52:55], a[44:47], v190, v186 op_sel_hi:[0,0,0] cbsz:4 blgp:4// 0000000057A0: D3AC7800 180375BE D3AD8C2C 84B26974
	v_mfma_scale_f32_16x16x128_f8f6f4 a[144:147], v[104:107], v[56:59], a[144:147], v190, v187 op_sel_hi:[0,0,0] cbsz:4 blgp:4// 0000000057B0: D3AC6000 000377BE D3AD8C90 86427168
	buffer_load_dword v193, v220, s[24:27], 0 offen            // 0000000057C0: E0501000 8006C1DC
	v_mfma_scale_f32_16x16x128_f8f6f4 a[148:151], v[104:107], v[60:63], a[148:151], v190, v187 op_sel_hi:[0,0,0] cbsz:4 blgp:4// 0000000057C8: D3AC7000 000377BE D3AD8C94 86527968
	v_mfma_scale_f32_16x16x128_f8f6f4 a[152:155], v[108:111], v[56:59], a[152:155], v190, v187 op_sel_hi:[0,0,0] cbsz:4 blgp:4// 0000000057D8: D3AC6800 000377BE D3AD8C98 8662716C
	v_mfma_scale_f32_16x16x128_f8f6f4 a[156:159], v[108:111], v[60:63], a[156:159], v190, v187 op_sel_hi:[0,0,0] cbsz:4 blgp:4// 0000000057E8: D3AC7800 000377BE D3AD8C9C 8672796C
	v_mfma_scale_f32_16x16x128_f8f6f4 a[144:147], v[112:115], v[64:67], a[144:147], v190, v187 op_sel_hi:[0,0,0] cbsz:4 blgp:4// 0000000057F8: D3AC6000 180377BE D3AD8C90 86428170
	v_mfma_scale_f32_16x16x128_f8f6f4 a[148:151], v[112:115], v[68:71], a[148:151], v190, v187 op_sel_hi:[0,0,0] cbsz:4 blgp:4// 000000005808: D3AC7000 180377BE D3AD8C94 86528970
	v_mfma_scale_f32_16x16x128_f8f6f4 a[152:155], v[116:119], v[64:67], a[152:155], v190, v187 op_sel_hi:[0,0,0] cbsz:4 blgp:4// 000000005818: D3AC6800 180377BE D3AD8C98 86628174
	v_mfma_scale_f32_16x16x128_f8f6f4 a[156:159], v[116:119], v[68:71], a[156:159], v190, v187 op_sel_hi:[0,0,0] cbsz:4 blgp:4// 000000005828: D3AC7800 180377BE D3AD8C9C 86728974
	s_waitcnt vmcnt(10)                                        // 000000005838: BF8C0F7A
	v_mfma_scale_f32_16x16x128_f8f6f4 a[48:51], v[120:123], v[40:43], a[48:51], v191, v186 op_sel_hi:[0,0,0] cbsz:4 blgp:4// 00000000583C: D3AC6000 000375BF D3AD8C30 84C25178
	s_add_u32 s63, 0x100, s60                                  // 00000000584C: 803F3CFF 00000100
	buffer_load_dwordx4 v[168:171], v213, s[16:19], 0 offen    // 000000005854: E05C1000 8004A8D5
	v_mfma_scale_f32_16x16x128_f8f6f4 a[52:55], v[120:123], v[44:47], a[52:55], v191, v186 op_sel_hi:[0,0,0] cbsz:4 blgp:4// 00000000585C: D3AC7000 000375BF D3AD8C34 84D25978
	s_cmp_lt_u32 s63, s61                                      // 00000000586C: BF0A3D3F
	s_cselect_b32 s67, s67, 0                                  // 000000005870: 85438043
	v_mfma_scale_f32_16x16x128_f8f6f4 a[56:59], v[124:127], v[40:43], a[56:59], v191, v186 op_sel_hi:[0,0,0] cbsz:4 blgp:4// 000000005874: D3AC6800 000375BF D3AD8C38 84E2517C
	s_cselect_b32 s69, s69, 0                                  // 000000005884: 85458045
	buffer_load_dwordx4 v[172:175], v214, s[16:19], 0 offen    // 000000005888: E05C1000 8004ACD6
	v_mfma_scale_f32_16x16x128_f8f6f4 a[60:63], v[124:127], v[44:47], a[60:63], v191, v186 op_sel_hi:[0,0,0] cbsz:4 blgp:4// 000000005890: D3AC7800 000375BF D3AD8C3C 84F2597C
	v_mfma_scale_f32_16x16x128_f8f6f4 a[48:51], v[128:131], v[48:51], a[48:51], v191, v186 op_sel_hi:[0,0,0] cbsz:4 blgp:4// 0000000058A0: D3AC6000 180375BF D3AD8C30 84C26180
	buffer_load_dwordx4 v[176:179], v213, s[16:19], 0 offen offset:1024// 0000000058B0: E05C1400 8004B0D5
	v_mfma_scale_f32_16x16x128_f8f6f4 a[52:55], v[128:131], v[52:55], a[52:55], v191, v186 op_sel_hi:[0,0,0] cbsz:4 blgp:4// 0000000058B8: D3AC7000 180375BF D3AD8C34 84D26980
	v_mfma_scale_f32_16x16x128_f8f6f4 a[56:59], v[132:135], v[48:51], a[56:59], v191, v186 op_sel_hi:[0,0,0] cbsz:4 blgp:4// 0000000058C8: D3AC6800 180375BF D3AD8C38 84E26184
	buffer_load_dwordx4 v[180:183], v214, s[16:19], 0 offen offset:1024// 0000000058D8: E05C1400 8004B4D6
	v_mfma_scale_f32_16x16x128_f8f6f4 a[60:63], v[132:135], v[52:55], a[60:63], v191, v186 op_sel_hi:[0,0,0] cbsz:4 blgp:4// 0000000058E0: D3AC7800 180375BF D3AD8C3C 84F26984
	v_mfma_scale_f32_16x16x128_f8f6f4 a[160:163], v[120:123], v[56:59], a[160:163], v191, v187 op_sel_hi:[0,0,0] cbsz:4 blgp:4// 0000000058F0: D3AC6000 000377BF D3AD8CA0 86827178
	buffer_load_dword v194, v221, s[24:27], 0 offen            // 000000005900: E0501000 8006C2DD
	v_mfma_scale_f32_16x16x128_f8f6f4 a[164:167], v[120:123], v[60:63], a[164:167], v191, v187 op_sel_hi:[0,0,0] cbsz:4 blgp:4// 000000005908: D3AC7000 000377BF D3AD8CA4 86927978
	s_add_u32 s16, s16, s67                                    // 000000005918: 80104310
	s_addc_u32 s17, 0, s17                                     // 00000000591C: 82111180
	v_mfma_scale_f32_16x16x128_f8f6f4 a[168:171], v[124:127], v[56:59], a[168:171], v191, v187 op_sel_hi:[0,0,0] cbsz:4 blgp:4// 000000005920: D3AC6800 000377BF D3AD8CA8 86A2717C
	s_sub_u32 s18, s18, s67                                    // 000000005930: 80924312
	s_add_u32 s24, s24, s69                                    // 000000005934: 80184518
	v_mfma_scale_f32_16x16x128_f8f6f4 a[172:175], v[124:127], v[60:63], a[172:175], v191, v187 op_sel_hi:[0,0,0] cbsz:4 blgp:4// 000000005938: D3AC7800 000377BF D3AD8CAC 86B2797C
	s_addc_u32 s25, 0, s25                                     // 000000005948: 82191980
	s_sub_u32 s26, s26, s69                                    // 00000000594C: 809A451A
	v_mfma_scale_f32_16x16x128_f8f6f4 a[160:163], v[128:131], v[64:67], a[160:163], v191, v187 op_sel_hi:[0,0,0] cbsz:4 blgp:4// 000000005950: D3AC6000 180377BF D3AD8CA0 86828180
	s_add_u32 m0, 0, s65                                       // 000000005960: 807C4180
	buffer_load_dword v199, s[20:23], 0 offen lds              // 000000005964: E0511000 800500C7
	v_mfma_scale_f32_16x16x128_f8f6f4 a[164:167], v[128:131], v[68:71], a[164:167], v191, v187 op_sel_hi:[0,0,0] cbsz:4 blgp:4// 00000000596C: D3AC7000 180377BF D3AD8CA4 86928980
	v_mfma_scale_f32_16x16x128_f8f6f4 a[168:171], v[132:135], v[64:67], a[168:171], v191, v187 op_sel_hi:[0,0,0] cbsz:4 blgp:4// 00000000597C: D3AC6800 180377BF D3AD8CA8 86A28184
	v_mfma_scale_f32_16x16x128_f8f6f4 a[172:175], v[132:135], v[68:71], a[172:175], v191, v187 op_sel_hi:[0,0,0] cbsz:4 blgp:4// 00000000598C: D3AC7800 180377BF D3AD8CAC 86B28984
	s_waitcnt vmcnt(11)                                        // 00000000599C: BF8C0F7B
	v_mfma_scale_f32_16x16x128_f8f6f4 a[64:67], v[136:139], v[40:43], a[64:67], v192, v186 op_sel_hi:[0,0,0] cbsz:4 blgp:4// 0000000059A0: D3AC6000 000375C0 D3AD8C40 85025188
	s_add_u32 m0, 0, s64                                       // 0000000059B0: 807C4080
	buffer_load_dwordx4 v195, s[12:15], 0 offen lds            // 0000000059B4: E05D1000 800300C3
	v_mfma_scale_f32_16x16x128_f8f6f4 a[68:71], v[136:139], v[44:47], a[68:71], v192, v186 op_sel_hi:[0,0,0] cbsz:4 blgp:4// 0000000059BC: D3AC7000 000375C0 D3AD8C44 85125988
	v_mfma_scale_f32_16x16x128_f8f6f4 a[72:75], v[140:143], v[40:43], a[72:75], v192, v186 op_sel_hi:[0,0,0] cbsz:4 blgp:4// 0000000059CC: D3AC6800 000375C0 D3AD8C48 8522518C
	s_add_u32 m0, 0x1080, s64                                  // 0000000059DC: 807C40FF 00001080
	buffer_load_dwordx4 v196, s[12:15], 0 offen lds            // 0000000059E4: E05D1000 800300C4
	v_mfma_scale_f32_16x16x128_f8f6f4 a[76:79], v[140:143], v[44:47], a[76:79], v192, v186 op_sel_hi:[0,0,0] cbsz:4 blgp:4// 0000000059EC: D3AC7800 000375C0 D3AD8C4C 8532598C
	s_add_u32 s62, 0x200, s60                                  // 0000000059FC: 803E3CFF 00000200
	s_cmp_lt_u32 s62, s61                                      // 000000005A04: BF0A3D3E
	v_mfma_scale_f32_16x16x128_f8f6f4 a[64:67], v[144:147], v[48:51], a[64:67], v192, v186 op_sel_hi:[0,0,0] cbsz:4 blgp:4// 000000005A08: D3AC6000 180375C0 D3AD8C40 85026190
	s_cselect_b32 s66, s66, 0                                  // 000000005A18: 85428042
	buffer_load_dwordx4 v[72:75], v201, s[16:19], 0 offen      // 000000005A1C: E05C1000 800448C9
	v_mfma_scale_f32_16x16x128_f8f6f4 a[68:71], v[144:147], v[52:55], a[68:71], v192, v186 op_sel_hi:[0,0,0] cbsz:4 blgp:4// 000000005A24: D3AC7000 180375C0 D3AD8C44 85126990
	s_cselect_b32 s68, s68, 0                                  // 000000005A34: 85448044
	s_add_u32 s12, s12, s66                                    // 000000005A38: 800C420C
	v_mfma_scale_f32_16x16x128_f8f6f4 a[72:75], v[148:151], v[48:51], a[72:75], v192, v186 op_sel_hi:[0,0,0] cbsz:4 blgp:4// 000000005A3C: D3AC6800 180375C0 D3AD8C48 85226194
	s_addc_u32 s13, 0, s13                                     // 000000005A4C: 820D0D80
	buffer_load_dwordx4 v[76:79], v202, s[16:19], 0 offen      // 000000005A50: E05C1000 80044CCA
	v_mfma_scale_f32_16x16x128_f8f6f4 a[76:79], v[148:151], v[52:55], a[76:79], v192, v186 op_sel_hi:[0,0,0] cbsz:4 blgp:4// 000000005A58: D3AC7800 180375C0 D3AD8C4C 85326994
	s_sub_u32 s14, s14, s66                                    // 000000005A68: 808E420E
	s_add_u32 s20, s20, s68                                    // 000000005A6C: 80144414
	v_mfma_scale_f32_16x16x128_f8f6f4 a[176:179], v[136:139], v[56:59], a[176:179], v192, v187 op_sel_hi:[0,0,0] cbsz:4 blgp:4// 000000005A70: D3AC6000 000377C0 D3AD8CB0 86C27188
	s_addc_u32 s21, 0, s21                                     // 000000005A80: 82151580
	buffer_load_dwordx4 v[80:83], v201, s[16:19], 0 offen offset:1024// 000000005A84: E05C1400 800450C9
	v_mfma_scale_f32_16x16x128_f8f6f4 a[180:183], v[136:139], v[60:63], a[180:183], v192, v187 op_sel_hi:[0,0,0] cbsz:4 blgp:4// 000000005A8C: D3AC7000 000377C0 D3AD8CB4 86D27988
	s_sub_u32 s22, s22, s68                                    // 000000005A9C: 80964416
	v_mfma_scale_f32_16x16x128_f8f6f4 a[184:187], v[140:143], v[56:59], a[184:187], v192, v187 op_sel_hi:[0,0,0] cbsz:4 blgp:4// 000000005AA0: D3AC6800 000377C0 D3AD8CB8 86E2718C
	buffer_load_dwordx4 v[84:87], v202, s[16:19], 0 offen offset:1024// 000000005AB0: E05C1400 800454CA
	v_mfma_scale_f32_16x16x128_f8f6f4 a[188:191], v[140:143], v[60:63], a[188:191], v192, v187 op_sel_hi:[0,0,0] cbsz:4 blgp:4// 000000005AB8: D3AC7800 000377C0 D3AD8CBC 86F2798C
	v_mfma_scale_f32_16x16x128_f8f6f4 a[176:179], v[144:147], v[64:67], a[176:179], v192, v187 op_sel_hi:[0,0,0] cbsz:4 blgp:4// 000000005AC8: D3AC6000 180377C0 D3AD8CB0 86C28190
	buffer_load_dword v188, v215, s[24:27], 0 offen            // 000000005AD8: E0501000 8006BCD7
	v_mfma_scale_f32_16x16x128_f8f6f4 a[180:183], v[144:147], v[68:71], a[180:183], v192, v187 op_sel_hi:[0,0,0] cbsz:4 blgp:4// 000000005AE0: D3AC7000 180377C0 D3AD8CB4 86D28990
	v_mfma_scale_f32_16x16x128_f8f6f4 a[184:187], v[148:151], v[64:67], a[184:187], v192, v187 op_sel_hi:[0,0,0] cbsz:4 blgp:4// 000000005AF0: D3AC6800 180377C0 D3AD8CB8 86E28194
	v_mfma_scale_f32_16x16x128_f8f6f4 a[188:191], v[148:151], v[68:71], a[188:191], v192, v187 op_sel_hi:[0,0,0] cbsz:4 blgp:4// 000000005B00: D3AC7800 180377C0 D3AD8CBC 86F28994
	s_waitcnt vmcnt(13)                                        // 000000005B10: BF8C0F7D
	v_mfma_scale_f32_16x16x128_f8f6f4 a[80:83], v[152:155], v[40:43], a[80:83], v193, v186 op_sel_hi:[0,0,0] cbsz:4 blgp:4// 000000005B14: D3AC6000 000375C1 D3AD8C50 85425198
	buffer_load_dwordx4 v[88:91], v203, s[16:19], 0 offen      // 000000005B24: E05C1000 800458CB
	v_mfma_scale_f32_16x16x128_f8f6f4 a[84:87], v[152:155], v[44:47], a[84:87], v193, v186 op_sel_hi:[0,0,0] cbsz:4 blgp:4// 000000005B2C: D3AC7000 000375C1 D3AD8C54 85525998
	v_mfma_scale_f32_16x16x128_f8f6f4 a[88:91], v[156:159], v[40:43], a[88:91], v193, v186 op_sel_hi:[0,0,0] cbsz:4 blgp:4// 000000005B3C: D3AC6800 000375C1 D3AD8C58 8562519C
	buffer_load_dwordx4 v[92:95], v204, s[16:19], 0 offen      // 000000005B4C: E05C1000 80045CCC
	v_mfma_scale_f32_16x16x128_f8f6f4 a[92:95], v[156:159], v[44:47], a[92:95], v193, v186 op_sel_hi:[0,0,0] cbsz:4 blgp:4// 000000005B54: D3AC7800 000375C1 D3AD8C5C 8572599C
	v_mfma_scale_f32_16x16x128_f8f6f4 a[80:83], v[160:163], v[48:51], a[80:83], v193, v186 op_sel_hi:[0,0,0] cbsz:4 blgp:4// 000000005B64: D3AC6000 180375C1 D3AD8C50 854261A0
	buffer_load_dwordx4 v[96:99], v203, s[16:19], 0 offen offset:1024// 000000005B74: E05C1400 800460CB
	v_mfma_scale_f32_16x16x128_f8f6f4 a[84:87], v[160:163], v[52:55], a[84:87], v193, v186 op_sel_hi:[0,0,0] cbsz:4 blgp:4// 000000005B7C: D3AC7000 180375C1 D3AD8C54 855269A0
	v_mfma_scale_f32_16x16x128_f8f6f4 a[88:91], v[164:167], v[48:51], a[88:91], v193, v186 op_sel_hi:[0,0,0] cbsz:4 blgp:4// 000000005B8C: D3AC6800 180375C1 D3AD8C58 856261A4
	buffer_load_dwordx4 v[100:103], v204, s[16:19], 0 offen offset:1024// 000000005B9C: E05C1400 800464CC
	v_mfma_scale_f32_16x16x128_f8f6f4 a[92:95], v[164:167], v[52:55], a[92:95], v193, v186 op_sel_hi:[0,0,0] cbsz:4 blgp:4// 000000005BA4: D3AC7800 180375C1 D3AD8C5C 857269A4
	v_mfma_scale_f32_16x16x128_f8f6f4 a[192:195], v[152:155], v[56:59], a[192:195], v193, v187 op_sel_hi:[0,0,0] cbsz:4 blgp:4// 000000005BB4: D3AC6000 000377C1 D3AD8CC0 87027198
	buffer_load_dword v189, v216, s[24:27], 0 offen            // 000000005BC4: E0501000 8006BDD8
	v_mfma_scale_f32_16x16x128_f8f6f4 a[196:199], v[152:155], v[60:63], a[196:199], v193, v187 op_sel_hi:[0,0,0] cbsz:4 blgp:4// 000000005BCC: D3AC7000 000377C1 D3AD8CC4 87127998
	v_mfma_scale_f32_16x16x128_f8f6f4 a[200:203], v[156:159], v[56:59], a[200:203], v193, v187 op_sel_hi:[0,0,0] cbsz:4 blgp:4// 000000005BDC: D3AC6800 000377C1 D3AD8CC8 8722719C
	v_mfma_scale_f32_16x16x128_f8f6f4 a[204:207], v[156:159], v[60:63], a[204:207], v193, v187 op_sel_hi:[0,0,0] cbsz:4 blgp:4// 000000005BEC: D3AC7800 000377C1 D3AD8CCC 8732799C
	v_mfma_scale_f32_16x16x128_f8f6f4 a[192:195], v[160:163], v[64:67], a[192:195], v193, v187 op_sel_hi:[0,0,0] cbsz:4 blgp:4// 000000005BFC: D3AC6000 180377C1 D3AD8CC0 870281A0
	v_mfma_scale_f32_16x16x128_f8f6f4 a[196:199], v[160:163], v[68:71], a[196:199], v193, v187 op_sel_hi:[0,0,0] cbsz:4 blgp:4// 000000005C0C: D3AC7000 180377C1 D3AD8CC4 871289A0
	v_mfma_scale_f32_16x16x128_f8f6f4 a[200:203], v[164:167], v[64:67], a[200:203], v193, v187 op_sel_hi:[0,0,0] cbsz:4 blgp:4// 000000005C1C: D3AC6800 180377C1 D3AD8CC8 872281A4
	v_mfma_scale_f32_16x16x128_f8f6f4 a[204:207], v[164:167], v[68:71], a[204:207], v193, v187 op_sel_hi:[0,0,0] cbsz:4 blgp:4// 000000005C2C: D3AC7800 180377C1 D3AD8CCC 873289A4
	s_waitcnt vmcnt(10)                                        // 000000005C3C: BF8C0F7A
	s_barrier                                                  // 000000005C40: BF8A0000
	v_mfma_scale_f32_16x16x128_f8f6f4 a[96:99], v[168:171], v[40:43], a[96:99], v194, v186 op_sel_hi:[0,0,0] cbsz:4 blgp:4// 000000005C44: D3AC6000 000375C2 D3AD8C60 858251A8
	s_addk_i32 s60, 0x100                                      // 000000005C54: B73C0100
	buffer_load_dwordx4 v[104:107], v205, s[16:19], 0 offen    // 000000005C58: E05C1000 800468CD
	v_mfma_scale_f32_16x16x128_f8f6f4 a[100:103], v[168:171], v[44:47], a[100:103], v194, v186 op_sel_hi:[0,0,0] cbsz:4 blgp:4// 000000005C60: D3AC7000 000375C2 D3AD8C64 859259A8
	s_cmp_lt_i32 s60, s61                                      // 000000005C70: BF043D3C
	ds_read_b128 v[8:11], v197                                 // 000000005C74: D9FE0000 080000C5
	v_mfma_scale_f32_16x16x128_f8f6f4 a[104:107], v[172:175], v[40:43], a[104:107], v194, v186 op_sel_hi:[0,0,0] cbsz:4 blgp:4// 000000005C7C: D3AC6800 000375C2 D3AD8C68 85A251AC
	buffer_load_dwordx4 v[108:111], v206, s[16:19], 0 offen    // 000000005C8C: E05C1000 80046CCE
	v_mfma_scale_f32_16x16x128_f8f6f4 a[108:111], v[172:175], v[44:47], a[108:111], v194, v186 op_sel_hi:[0,0,0] cbsz:4 blgp:4// 000000005C94: D3AC7800 000375C2 D3AD8C6C 85B259AC
	ds_read_b128 v[16:19], v197 offset:64                      // 000000005CA4: D9FE0040 100000C5
	v_mfma_scale_f32_16x16x128_f8f6f4 a[96:99], v[176:179], v[48:51], a[96:99], v194, v186 op_sel_hi:[0,0,0] cbsz:4 blgp:4// 000000005CAC: D3AC6000 180375C2 D3AD8C60 858261B0
	buffer_load_dwordx4 v[112:115], v205, s[16:19], 0 offen offset:1024// 000000005CBC: E05C1400 800470CD
	v_mfma_scale_f32_16x16x128_f8f6f4 a[100:103], v[176:179], v[52:55], a[100:103], v194, v186 op_sel_hi:[0,0,0] cbsz:4 blgp:4// 000000005CC4: D3AC7000 180375C2 D3AD8C64 859269B0
	ds_read_b128 v[12:15], v197 offset:512                     // 000000005CD4: D9FE0200 0C0000C5
	v_mfma_scale_f32_16x16x128_f8f6f4 a[104:107], v[180:183], v[48:51], a[104:107], v194, v186 op_sel_hi:[0,0,0] cbsz:4 blgp:4// 000000005CDC: D3AC6800 180375C2 D3AD8C68 85A261B4
	buffer_load_dwordx4 v[116:119], v206, s[16:19], 0 offen offset:1024// 000000005CEC: E05C1400 800474CE
	v_mfma_scale_f32_16x16x128_f8f6f4 a[108:111], v[180:183], v[52:55], a[108:111], v194, v186 op_sel_hi:[0,0,0] cbsz:4 blgp:4// 000000005CF4: D3AC7800 180375C2 D3AD8C6C 85B269B4
	ds_read_b128 v[20:23], v197 offset:576                     // 000000005D04: D9FE0240 140000C5
	ds_read_b32 v184, v200                                     // 000000005D0C: D86C0000 B80000C8
	v_mfma_scale_f32_16x16x128_f8f6f4 a[208:211], v[168:171], v[56:59], a[208:211], v194, v187 op_sel_hi:[0,0,0] cbsz:4 blgp:4// 000000005D14: D3AC6000 000377C2 D3AD8CD0 874271A8
	buffer_load_dword v190, v217, s[24:27], 0 offen            // 000000005D24: E0501000 8006BED9
	v_mfma_scale_f32_16x16x128_f8f6f4 a[212:215], v[168:171], v[60:63], a[212:215], v194, v187 op_sel_hi:[0,0,0] cbsz:4 blgp:4// 000000005D2C: D3AC7000 000377C2 D3AD8CD4 875279A8
	ds_read_b128 v[24:27], v197 offset:4224                    // 000000005D3C: D9FE1080 180000C5
	v_mfma_scale_f32_16x16x128_f8f6f4 a[216:219], v[172:175], v[56:59], a[216:219], v194, v187 op_sel_hi:[0,0,0] cbsz:4 blgp:4// 000000005D44: D3AC6800 000377C2 D3AD8CD8 876271AC
	v_mfma_scale_f32_16x16x128_f8f6f4 a[220:223], v[172:175], v[60:63], a[220:223], v194, v187 op_sel_hi:[0,0,0] cbsz:4 blgp:4// 000000005D54: D3AC7800 000377C2 D3AD8CDC 877279AC
	ds_read_b128 v[32:35], v197 offset:4288                    // 000000005D64: D9FE10C0 200000C5
	v_mfma_scale_f32_16x16x128_f8f6f4 a[208:211], v[176:179], v[64:67], a[208:211], v194, v187 op_sel_hi:[0,0,0] cbsz:4 blgp:4// 000000005D6C: D3AC6000 180377C2 D3AD8CD0 874281B0
	v_mfma_scale_f32_16x16x128_f8f6f4 a[212:215], v[176:179], v[68:71], a[212:215], v194, v187 op_sel_hi:[0,0,0] cbsz:4 blgp:4// 000000005D7C: D3AC7000 180377C2 D3AD8CD4 875289B0
	ds_read_b128 v[28:31], v197 offset:4736                    // 000000005D8C: D9FE1280 1C0000C5
	v_mfma_scale_f32_16x16x128_f8f6f4 a[216:219], v[180:183], v[64:67], a[216:219], v194, v187 op_sel_hi:[0,0,0] cbsz:4 blgp:4// 000000005D94: D3AC6800 180377C2 D3AD8CD8 876281B4
	v_mfma_scale_f32_16x16x128_f8f6f4 a[220:223], v[180:183], v[68:71], a[220:223], v194, v187 op_sel_hi:[0,0,0] cbsz:4 blgp:4// 000000005DA4: D3AC7800 180377C2 D3AD8CDC 877289B4
	ds_read_b128 v[36:39], v197 offset:4800                    // 000000005DB4: D9FE12C0 240000C5
	ds_read_b32 v185, v200 offset:256                          // 000000005DBC: D86C0100 B90000C8
	s_cbranch_scc0 label_0C73                                  // 000000005DC4: BF840001
	s_branch label_07E4                                        // 000000005DC8: BF82FB71

0000000000005dcc <label_0C73>:
	s_waitcnt lgkmcnt(0)                                       // 000000005DCC: BF8CC07F
	s_mul_i32 s62, s47, 0x380                                  // 000000005DD0: 923EFF2F 00000380
	s_mul_i32 s63, s46, 0xe0                                   // 000000005DD8: 923FFF2E 000000E0
	s_add_u32 s60, s62, s63                                    // 000000005DE0: 803C3F3E
	s_add_u32 s62, s60, 0xe0                                   // 000000005DE4: 803EFF3C 000000E0
	s_cmp_lt_i32 s44, s62                                      // 000000005DEC: BF043E2C
	s_cbranch_scc1 label_100B                                  // 000000005DF0: BF85038E
	s_mul_i32 s62, s36, 16                                     // 000000005DF4: 923E9024
	v_add_u32_e32 v226, 0, v222                                // 000000005DF8: 69C5BC80
	v_accvgpr_read_b32 v8, a0                                  // 000000005DFC: D3D84008 18000100
	v_accvgpr_read_b32 v9, a1                                  // 000000005E04: D3D84009 18000101
	v_accvgpr_read_b32 v10, a2                                 // 000000005E0C: D3D8400A 18000102
	v_accvgpr_read_b32 v11, a3                                 // 000000005E14: D3D8400B 18000103
	v_accvgpr_read_b32 v12, a8                                 // 000000005E1C: D3D8400C 18000108
	v_accvgpr_read_b32 v13, a9                                 // 000000005E24: D3D8400D 18000109
	v_accvgpr_read_b32 v14, a10                                // 000000005E2C: D3D8400E 1800010A
	v_accvgpr_read_b32 v15, a11                                // 000000005E34: D3D8400F 1800010B
	v_cvt_pk_bf16_f32 v16, v8, v9                              // 000000005E3C: D2680010 00021308
	v_cvt_pk_bf16_f32 v17, v10, v11                            // 000000005E44: D2680011 0002170A
	v_cvt_pk_bf16_f32 v18, v12, v13                            // 000000005E4C: D2680012 00021B0C
	v_cvt_pk_bf16_f32 v19, v14, v15                            // 000000005E54: D2680013 00021F0E
	s_nop 1                                                    // 000000005E5C: BF800001
	v_permlane16_swap_b32_e32 v16, v18                         // 000000005E60: 7E20B312
	s_nop 1                                                    // 000000005E64: BF800001
	v_permlane16_swap_b32_e32 v17, v19                         // 000000005E68: 7E22B313
	s_nop 1                                                    // 000000005E6C: BF800001
	buffer_store_dwordx4 v[16:19], v226, s[4:7], 0 offen       // 000000005E70: E07C1000 800110E2
	v_add_u32_e32 v226, s62, v226                              // 000000005E78: 69C5C43E
	v_accvgpr_read_b32 v8, a4                                  // 000000005E7C: D3D84008 18000104
	v_accvgpr_read_b32 v9, a5                                  // 000000005E84: D3D84009 18000105
	v_accvgpr_read_b32 v10, a6                                 // 000000005E8C: D3D8400A 18000106
	v_accvgpr_read_b32 v11, a7                                 // 000000005E94: D3D8400B 18000107
	v_accvgpr_read_b32 v12, a12                                // 000000005E9C: D3D8400C 1800010C
	v_accvgpr_read_b32 v13, a13                                // 000000005EA4: D3D8400D 1800010D
	v_accvgpr_read_b32 v14, a14                                // 000000005EAC: D3D8400E 1800010E
	v_accvgpr_read_b32 v15, a15                                // 000000005EB4: D3D8400F 1800010F
	v_cvt_pk_bf16_f32 v16, v8, v9                              // 000000005EBC: D2680010 00021308
	v_cvt_pk_bf16_f32 v17, v10, v11                            // 000000005EC4: D2680011 0002170A
	v_cvt_pk_bf16_f32 v18, v12, v13                            // 000000005ECC: D2680012 00021B0C
	v_cvt_pk_bf16_f32 v19, v14, v15                            // 000000005ED4: D2680013 00021F0E
	s_nop 1                                                    // 000000005EDC: BF800001
	v_permlane16_swap_b32_e32 v16, v18                         // 000000005EE0: 7E20B312
	s_nop 1                                                    // 000000005EE4: BF800001
	v_permlane16_swap_b32_e32 v17, v19                         // 000000005EE8: 7E22B313
	s_nop 1                                                    // 000000005EEC: BF800001
	buffer_store_dwordx4 v[16:19], v226, s[4:7], 0 offen       // 000000005EF0: E07C1000 800110E2
	v_add_u32_e32 v226, s62, v226                              // 000000005EF8: 69C5C43E
	v_accvgpr_read_b32 v8, a112                                // 000000005EFC: D3D84008 18000170
	v_accvgpr_read_b32 v9, a113                                // 000000005F04: D3D84009 18000171
	v_accvgpr_read_b32 v10, a114                               // 000000005F0C: D3D8400A 18000172
	v_accvgpr_read_b32 v11, a115                               // 000000005F14: D3D8400B 18000173
	v_accvgpr_read_b32 v12, a120                               // 000000005F1C: D3D8400C 18000178
	v_accvgpr_read_b32 v13, a121                               // 000000005F24: D3D8400D 18000179
	v_accvgpr_read_b32 v14, a122                               // 000000005F2C: D3D8400E 1800017A
	v_accvgpr_read_b32 v15, a123                               // 000000005F34: D3D8400F 1800017B
	v_cvt_pk_bf16_f32 v16, v8, v9                              // 000000005F3C: D2680010 00021308
	v_cvt_pk_bf16_f32 v17, v10, v11                            // 000000005F44: D2680011 0002170A
	v_cvt_pk_bf16_f32 v18, v12, v13                            // 000000005F4C: D2680012 00021B0C
	v_cvt_pk_bf16_f32 v19, v14, v15                            // 000000005F54: D2680013 00021F0E
	s_nop 1                                                    // 000000005F5C: BF800001
	v_permlane16_swap_b32_e32 v16, v18                         // 000000005F60: 7E20B312
	s_nop 1                                                    // 000000005F64: BF800001
	v_permlane16_swap_b32_e32 v17, v19                         // 000000005F68: 7E22B313
	s_nop 1                                                    // 000000005F6C: BF800001
	buffer_store_dwordx4 v[16:19], v226, s[4:7], 0 offen       // 000000005F70: E07C1000 800110E2
	v_add_u32_e32 v226, s62, v226                              // 000000005F78: 69C5C43E
	v_accvgpr_read_b32 v8, a116                                // 000000005F7C: D3D84008 18000174
	v_accvgpr_read_b32 v9, a117                                // 000000005F84: D3D84009 18000175
	v_accvgpr_read_b32 v10, a118                               // 000000005F8C: D3D8400A 18000176
	v_accvgpr_read_b32 v11, a119                               // 000000005F94: D3D8400B 18000177
	v_accvgpr_read_b32 v12, a124                               // 000000005F9C: D3D8400C 1800017C
	v_accvgpr_read_b32 v13, a125                               // 000000005FA4: D3D8400D 1800017D
	v_accvgpr_read_b32 v14, a126                               // 000000005FAC: D3D8400E 1800017E
	v_accvgpr_read_b32 v15, a127                               // 000000005FB4: D3D8400F 1800017F
	v_cvt_pk_bf16_f32 v16, v8, v9                              // 000000005FBC: D2680010 00021308
	v_cvt_pk_bf16_f32 v17, v10, v11                            // 000000005FC4: D2680011 0002170A
	v_cvt_pk_bf16_f32 v18, v12, v13                            // 000000005FCC: D2680012 00021B0C
	v_cvt_pk_bf16_f32 v19, v14, v15                            // 000000005FD4: D2680013 00021F0E
	s_nop 1                                                    // 000000005FDC: BF800001
	v_permlane16_swap_b32_e32 v16, v18                         // 000000005FE0: 7E20B312
	s_nop 1                                                    // 000000005FE4: BF800001
	v_permlane16_swap_b32_e32 v17, v19                         // 000000005FE8: 7E22B313
	s_nop 1                                                    // 000000005FEC: BF800001
	buffer_store_dwordx4 v[16:19], v226, s[4:7], 0 offen       // 000000005FF0: E07C1000 800110E2
	v_add_u32_e32 v226, s62, v226                              // 000000005FF8: 69C5C43E
	v_add_u32_e32 v226, 64, v222                               // 000000005FFC: 69C5BCC0
	v_accvgpr_read_b32 v8, a16                                 // 000000006000: D3D84008 18000110
	v_accvgpr_read_b32 v9, a17                                 // 000000006008: D3D84009 18000111
	v_accvgpr_read_b32 v10, a18                                // 000000006010: D3D8400A 18000112
	v_accvgpr_read_b32 v11, a19                                // 000000006018: D3D8400B 18000113
	v_accvgpr_read_b32 v12, a24                                // 000000006020: D3D8400C 18000118
	v_accvgpr_read_b32 v13, a25                                // 000000006028: D3D8400D 18000119
	v_accvgpr_read_b32 v14, a26                                // 000000006030: D3D8400E 1800011A
	v_accvgpr_read_b32 v15, a27                                // 000000006038: D3D8400F 1800011B
	v_cvt_pk_bf16_f32 v16, v8, v9                              // 000000006040: D2680010 00021308
	v_cvt_pk_bf16_f32 v17, v10, v11                            // 000000006048: D2680011 0002170A
	v_cvt_pk_bf16_f32 v18, v12, v13                            // 000000006050: D2680012 00021B0C
	v_cvt_pk_bf16_f32 v19, v14, v15                            // 000000006058: D2680013 00021F0E
	s_nop 1                                                    // 000000006060: BF800001
	v_permlane16_swap_b32_e32 v16, v18                         // 000000006064: 7E20B312
	s_nop 1                                                    // 000000006068: BF800001
	v_permlane16_swap_b32_e32 v17, v19                         // 00000000606C: 7E22B313
	s_nop 1                                                    // 000000006070: BF800001
	buffer_store_dwordx4 v[16:19], v226, s[4:7], 0 offen       // 000000006074: E07C1000 800110E2
	v_add_u32_e32 v226, s62, v226                              // 00000000607C: 69C5C43E
	v_accvgpr_read_b32 v8, a20                                 // 000000006080: D3D84008 18000114
	v_accvgpr_read_b32 v9, a21                                 // 000000006088: D3D84009 18000115
	v_accvgpr_read_b32 v10, a22                                // 000000006090: D3D8400A 18000116
	v_accvgpr_read_b32 v11, a23                                // 000000006098: D3D8400B 18000117
	v_accvgpr_read_b32 v12, a28                                // 0000000060A0: D3D8400C 1800011C
	v_accvgpr_read_b32 v13, a29                                // 0000000060A8: D3D8400D 1800011D
	v_accvgpr_read_b32 v14, a30                                // 0000000060B0: D3D8400E 1800011E
	v_accvgpr_read_b32 v15, a31                                // 0000000060B8: D3D8400F 1800011F
	v_cvt_pk_bf16_f32 v16, v8, v9                              // 0000000060C0: D2680010 00021308
	v_cvt_pk_bf16_f32 v17, v10, v11                            // 0000000060C8: D2680011 0002170A
	v_cvt_pk_bf16_f32 v18, v12, v13                            // 0000000060D0: D2680012 00021B0C
	v_cvt_pk_bf16_f32 v19, v14, v15                            // 0000000060D8: D2680013 00021F0E
	s_nop 1                                                    // 0000000060E0: BF800001
	v_permlane16_swap_b32_e32 v16, v18                         // 0000000060E4: 7E20B312
	s_nop 1                                                    // 0000000060E8: BF800001
	v_permlane16_swap_b32_e32 v17, v19                         // 0000000060EC: 7E22B313
	s_nop 1                                                    // 0000000060F0: BF800001
	buffer_store_dwordx4 v[16:19], v226, s[4:7], 0 offen       // 0000000060F4: E07C1000 800110E2
	v_add_u32_e32 v226, s62, v226                              // 0000000060FC: 69C5C43E
	v_accvgpr_read_b32 v8, a128                                // 000000006100: D3D84008 18000180
	v_accvgpr_read_b32 v9, a129                                // 000000006108: D3D84009 18000181
	v_accvgpr_read_b32 v10, a130                               // 000000006110: D3D8400A 18000182
	v_accvgpr_read_b32 v11, a131                               // 000000006118: D3D8400B 18000183
	v_accvgpr_read_b32 v12, a136                               // 000000006120: D3D8400C 18000188
	v_accvgpr_read_b32 v13, a137                               // 000000006128: D3D8400D 18000189
	v_accvgpr_read_b32 v14, a138                               // 000000006130: D3D8400E 1800018A
	v_accvgpr_read_b32 v15, a139                               // 000000006138: D3D8400F 1800018B
	v_cvt_pk_bf16_f32 v16, v8, v9                              // 000000006140: D2680010 00021308
	v_cvt_pk_bf16_f32 v17, v10, v11                            // 000000006148: D2680011 0002170A
	v_cvt_pk_bf16_f32 v18, v12, v13                            // 000000006150: D2680012 00021B0C
	v_cvt_pk_bf16_f32 v19, v14, v15                            // 000000006158: D2680013 00021F0E
	s_nop 1                                                    // 000000006160: BF800001
	v_permlane16_swap_b32_e32 v16, v18                         // 000000006164: 7E20B312
	s_nop 1                                                    // 000000006168: BF800001
	v_permlane16_swap_b32_e32 v17, v19                         // 00000000616C: 7E22B313
	s_nop 1                                                    // 000000006170: BF800001
	buffer_store_dwordx4 v[16:19], v226, s[4:7], 0 offen       // 000000006174: E07C1000 800110E2
	v_add_u32_e32 v226, s62, v226                              // 00000000617C: 69C5C43E
	v_accvgpr_read_b32 v8, a132                                // 000000006180: D3D84008 18000184
	v_accvgpr_read_b32 v9, a133                                // 000000006188: D3D84009 18000185
	v_accvgpr_read_b32 v10, a134                               // 000000006190: D3D8400A 18000186
	v_accvgpr_read_b32 v11, a135                               // 000000006198: D3D8400B 18000187
	v_accvgpr_read_b32 v12, a140                               // 0000000061A0: D3D8400C 1800018C
	v_accvgpr_read_b32 v13, a141                               // 0000000061A8: D3D8400D 1800018D
	v_accvgpr_read_b32 v14, a142                               // 0000000061B0: D3D8400E 1800018E
	v_accvgpr_read_b32 v15, a143                               // 0000000061B8: D3D8400F 1800018F
	v_cvt_pk_bf16_f32 v16, v8, v9                              // 0000000061C0: D2680010 00021308
	v_cvt_pk_bf16_f32 v17, v10, v11                            // 0000000061C8: D2680011 0002170A
	v_cvt_pk_bf16_f32 v18, v12, v13                            // 0000000061D0: D2680012 00021B0C
	v_cvt_pk_bf16_f32 v19, v14, v15                            // 0000000061D8: D2680013 00021F0E
	s_nop 1                                                    // 0000000061E0: BF800001
	v_permlane16_swap_b32_e32 v16, v18                         // 0000000061E4: 7E20B312
	s_nop 1                                                    // 0000000061E8: BF800001
	v_permlane16_swap_b32_e32 v17, v19                         // 0000000061EC: 7E22B313
	s_nop 1                                                    // 0000000061F0: BF800001
	buffer_store_dwordx4 v[16:19], v226, s[4:7], 0 offen       // 0000000061F4: E07C1000 800110E2
	v_add_u32_e32 v226, s62, v226                              // 0000000061FC: 69C5C43E
	v_add_u32_e32 v226, 0x80, v222                             // 000000006200: 69C5BCFF 00000080
	v_accvgpr_read_b32 v8, a32                                 // 000000006208: D3D84008 18000120
	v_accvgpr_read_b32 v9, a33                                 // 000000006210: D3D84009 18000121
	v_accvgpr_read_b32 v10, a34                                // 000000006218: D3D8400A 18000122
	v_accvgpr_read_b32 v11, a35                                // 000000006220: D3D8400B 18000123
	v_accvgpr_read_b32 v12, a40                                // 000000006228: D3D8400C 18000128
	v_accvgpr_read_b32 v13, a41                                // 000000006230: D3D8400D 18000129
	v_accvgpr_read_b32 v14, a42                                // 000000006238: D3D8400E 1800012A
	v_accvgpr_read_b32 v15, a43                                // 000000006240: D3D8400F 1800012B
	v_cvt_pk_bf16_f32 v16, v8, v9                              // 000000006248: D2680010 00021308
	v_cvt_pk_bf16_f32 v17, v10, v11                            // 000000006250: D2680011 0002170A
	v_cvt_pk_bf16_f32 v18, v12, v13                            // 000000006258: D2680012 00021B0C
	v_cvt_pk_bf16_f32 v19, v14, v15                            // 000000006260: D2680013 00021F0E
	s_nop 1                                                    // 000000006268: BF800001
	v_permlane16_swap_b32_e32 v16, v18                         // 00000000626C: 7E20B312
	s_nop 1                                                    // 000000006270: BF800001
	v_permlane16_swap_b32_e32 v17, v19                         // 000000006274: 7E22B313
	s_nop 1                                                    // 000000006278: BF800001
	buffer_store_dwordx4 v[16:19], v226, s[4:7], 0 offen       // 00000000627C: E07C1000 800110E2
	v_add_u32_e32 v226, s62, v226                              // 000000006284: 69C5C43E
	v_accvgpr_read_b32 v8, a36                                 // 000000006288: D3D84008 18000124
	v_accvgpr_read_b32 v9, a37                                 // 000000006290: D3D84009 18000125
	v_accvgpr_read_b32 v10, a38                                // 000000006298: D3D8400A 18000126
	v_accvgpr_read_b32 v11, a39                                // 0000000062A0: D3D8400B 18000127
	v_accvgpr_read_b32 v12, a44                                // 0000000062A8: D3D8400C 1800012C
	v_accvgpr_read_b32 v13, a45                                // 0000000062B0: D3D8400D 1800012D
	v_accvgpr_read_b32 v14, a46                                // 0000000062B8: D3D8400E 1800012E
	v_accvgpr_read_b32 v15, a47                                // 0000000062C0: D3D8400F 1800012F
	v_cvt_pk_bf16_f32 v16, v8, v9                              // 0000000062C8: D2680010 00021308
	v_cvt_pk_bf16_f32 v17, v10, v11                            // 0000000062D0: D2680011 0002170A
	v_cvt_pk_bf16_f32 v18, v12, v13                            // 0000000062D8: D2680012 00021B0C
	v_cvt_pk_bf16_f32 v19, v14, v15                            // 0000000062E0: D2680013 00021F0E
	s_nop 1                                                    // 0000000062E8: BF800001
	v_permlane16_swap_b32_e32 v16, v18                         // 0000000062EC: 7E20B312
	s_nop 1                                                    // 0000000062F0: BF800001
	v_permlane16_swap_b32_e32 v17, v19                         // 0000000062F4: 7E22B313
	s_nop 1                                                    // 0000000062F8: BF800001
	buffer_store_dwordx4 v[16:19], v226, s[4:7], 0 offen       // 0000000062FC: E07C1000 800110E2
	v_add_u32_e32 v226, s62, v226                              // 000000006304: 69C5C43E
	v_accvgpr_read_b32 v8, a144                                // 000000006308: D3D84008 18000190
	v_accvgpr_read_b32 v9, a145                                // 000000006310: D3D84009 18000191
	v_accvgpr_read_b32 v10, a146                               // 000000006318: D3D8400A 18000192
	v_accvgpr_read_b32 v11, a147                               // 000000006320: D3D8400B 18000193
	v_accvgpr_read_b32 v12, a152                               // 000000006328: D3D8400C 18000198
	v_accvgpr_read_b32 v13, a153                               // 000000006330: D3D8400D 18000199
	v_accvgpr_read_b32 v14, a154                               // 000000006338: D3D8400E 1800019A
	v_accvgpr_read_b32 v15, a155                               // 000000006340: D3D8400F 1800019B
	v_cvt_pk_bf16_f32 v16, v8, v9                              // 000000006348: D2680010 00021308
	v_cvt_pk_bf16_f32 v17, v10, v11                            // 000000006350: D2680011 0002170A
	v_cvt_pk_bf16_f32 v18, v12, v13                            // 000000006358: D2680012 00021B0C
	v_cvt_pk_bf16_f32 v19, v14, v15                            // 000000006360: D2680013 00021F0E
	s_nop 1                                                    // 000000006368: BF800001
	v_permlane16_swap_b32_e32 v16, v18                         // 00000000636C: 7E20B312
	s_nop 1                                                    // 000000006370: BF800001
	v_permlane16_swap_b32_e32 v17, v19                         // 000000006374: 7E22B313
	s_nop 1                                                    // 000000006378: BF800001
	buffer_store_dwordx4 v[16:19], v226, s[4:7], 0 offen       // 00000000637C: E07C1000 800110E2
	v_add_u32_e32 v226, s62, v226                              // 000000006384: 69C5C43E
	v_accvgpr_read_b32 v8, a148                                // 000000006388: D3D84008 18000194
	v_accvgpr_read_b32 v9, a149                                // 000000006390: D3D84009 18000195
	v_accvgpr_read_b32 v10, a150                               // 000000006398: D3D8400A 18000196
	v_accvgpr_read_b32 v11, a151                               // 0000000063A0: D3D8400B 18000197
	v_accvgpr_read_b32 v12, a156                               // 0000000063A8: D3D8400C 1800019C
	v_accvgpr_read_b32 v13, a157                               // 0000000063B0: D3D8400D 1800019D
	v_accvgpr_read_b32 v14, a158                               // 0000000063B8: D3D8400E 1800019E
	v_accvgpr_read_b32 v15, a159                               // 0000000063C0: D3D8400F 1800019F
	v_cvt_pk_bf16_f32 v16, v8, v9                              // 0000000063C8: D2680010 00021308
	v_cvt_pk_bf16_f32 v17, v10, v11                            // 0000000063D0: D2680011 0002170A
	v_cvt_pk_bf16_f32 v18, v12, v13                            // 0000000063D8: D2680012 00021B0C
	v_cvt_pk_bf16_f32 v19, v14, v15                            // 0000000063E0: D2680013 00021F0E
	s_nop 1                                                    // 0000000063E8: BF800001
	v_permlane16_swap_b32_e32 v16, v18                         // 0000000063EC: 7E20B312
	s_nop 1                                                    // 0000000063F0: BF800001
	v_permlane16_swap_b32_e32 v17, v19                         // 0000000063F4: 7E22B313
	s_nop 1                                                    // 0000000063F8: BF800001
	buffer_store_dwordx4 v[16:19], v226, s[4:7], 0 offen       // 0000000063FC: E07C1000 800110E2
	v_add_u32_e32 v226, s62, v226                              // 000000006404: 69C5C43E
	v_add_u32_e32 v226, 0xc0, v222                             // 000000006408: 69C5BCFF 000000C0
	v_accvgpr_read_b32 v8, a48                                 // 000000006410: D3D84008 18000130
	v_accvgpr_read_b32 v9, a49                                 // 000000006418: D3D84009 18000131
	v_accvgpr_read_b32 v10, a50                                // 000000006420: D3D8400A 18000132
	v_accvgpr_read_b32 v11, a51                                // 000000006428: D3D8400B 18000133
	v_accvgpr_read_b32 v12, a56                                // 000000006430: D3D8400C 18000138
	v_accvgpr_read_b32 v13, a57                                // 000000006438: D3D8400D 18000139
	v_accvgpr_read_b32 v14, a58                                // 000000006440: D3D8400E 1800013A
	v_accvgpr_read_b32 v15, a59                                // 000000006448: D3D8400F 1800013B
	v_cvt_pk_bf16_f32 v16, v8, v9                              // 000000006450: D2680010 00021308
	v_cvt_pk_bf16_f32 v17, v10, v11                            // 000000006458: D2680011 0002170A
	v_cvt_pk_bf16_f32 v18, v12, v13                            // 000000006460: D2680012 00021B0C
	v_cvt_pk_bf16_f32 v19, v14, v15                            // 000000006468: D2680013 00021F0E
	s_nop 1                                                    // 000000006470: BF800001
	v_permlane16_swap_b32_e32 v16, v18                         // 000000006474: 7E20B312
	s_nop 1                                                    // 000000006478: BF800001
	v_permlane16_swap_b32_e32 v17, v19                         // 00000000647C: 7E22B313
	s_nop 1                                                    // 000000006480: BF800001
	buffer_store_dwordx4 v[16:19], v226, s[4:7], 0 offen       // 000000006484: E07C1000 800110E2
	v_add_u32_e32 v226, s62, v226                              // 00000000648C: 69C5C43E
	v_accvgpr_read_b32 v8, a52                                 // 000000006490: D3D84008 18000134
	v_accvgpr_read_b32 v9, a53                                 // 000000006498: D3D84009 18000135
	v_accvgpr_read_b32 v10, a54                                // 0000000064A0: D3D8400A 18000136
	v_accvgpr_read_b32 v11, a55                                // 0000000064A8: D3D8400B 18000137
	v_accvgpr_read_b32 v12, a60                                // 0000000064B0: D3D8400C 1800013C
	v_accvgpr_read_b32 v13, a61                                // 0000000064B8: D3D8400D 1800013D
	v_accvgpr_read_b32 v14, a62                                // 0000000064C0: D3D8400E 1800013E
	v_accvgpr_read_b32 v15, a63                                // 0000000064C8: D3D8400F 1800013F
	v_cvt_pk_bf16_f32 v16, v8, v9                              // 0000000064D0: D2680010 00021308
	v_cvt_pk_bf16_f32 v17, v10, v11                            // 0000000064D8: D2680011 0002170A
	v_cvt_pk_bf16_f32 v18, v12, v13                            // 0000000064E0: D2680012 00021B0C
	v_cvt_pk_bf16_f32 v19, v14, v15                            // 0000000064E8: D2680013 00021F0E
	s_nop 1                                                    // 0000000064F0: BF800001
	v_permlane16_swap_b32_e32 v16, v18                         // 0000000064F4: 7E20B312
	s_nop 1                                                    // 0000000064F8: BF800001
	v_permlane16_swap_b32_e32 v17, v19                         // 0000000064FC: 7E22B313
	s_nop 1                                                    // 000000006500: BF800001
	buffer_store_dwordx4 v[16:19], v226, s[4:7], 0 offen       // 000000006504: E07C1000 800110E2
	v_add_u32_e32 v226, s62, v226                              // 00000000650C: 69C5C43E
	v_accvgpr_read_b32 v8, a160                                // 000000006510: D3D84008 180001A0
	v_accvgpr_read_b32 v9, a161                                // 000000006518: D3D84009 180001A1
	v_accvgpr_read_b32 v10, a162                               // 000000006520: D3D8400A 180001A2
	v_accvgpr_read_b32 v11, a163                               // 000000006528: D3D8400B 180001A3
	v_accvgpr_read_b32 v12, a168                               // 000000006530: D3D8400C 180001A8
	v_accvgpr_read_b32 v13, a169                               // 000000006538: D3D8400D 180001A9
	v_accvgpr_read_b32 v14, a170                               // 000000006540: D3D8400E 180001AA
	v_accvgpr_read_b32 v15, a171                               // 000000006548: D3D8400F 180001AB
	v_cvt_pk_bf16_f32 v16, v8, v9                              // 000000006550: D2680010 00021308
	v_cvt_pk_bf16_f32 v17, v10, v11                            // 000000006558: D2680011 0002170A
	v_cvt_pk_bf16_f32 v18, v12, v13                            // 000000006560: D2680012 00021B0C
	v_cvt_pk_bf16_f32 v19, v14, v15                            // 000000006568: D2680013 00021F0E
	s_nop 1                                                    // 000000006570: BF800001
	v_permlane16_swap_b32_e32 v16, v18                         // 000000006574: 7E20B312
	s_nop 1                                                    // 000000006578: BF800001
	v_permlane16_swap_b32_e32 v17, v19                         // 00000000657C: 7E22B313
	s_nop 1                                                    // 000000006580: BF800001
	buffer_store_dwordx4 v[16:19], v226, s[4:7], 0 offen       // 000000006584: E07C1000 800110E2
	v_add_u32_e32 v226, s62, v226                              // 00000000658C: 69C5C43E
	v_accvgpr_read_b32 v8, a164                                // 000000006590: D3D84008 180001A4
	v_accvgpr_read_b32 v9, a165                                // 000000006598: D3D84009 180001A5
	v_accvgpr_read_b32 v10, a166                               // 0000000065A0: D3D8400A 180001A6
	v_accvgpr_read_b32 v11, a167                               // 0000000065A8: D3D8400B 180001A7
	v_accvgpr_read_b32 v12, a172                               // 0000000065B0: D3D8400C 180001AC
	v_accvgpr_read_b32 v13, a173                               // 0000000065B8: D3D8400D 180001AD
	v_accvgpr_read_b32 v14, a174                               // 0000000065C0: D3D8400E 180001AE
	v_accvgpr_read_b32 v15, a175                               // 0000000065C8: D3D8400F 180001AF
	v_cvt_pk_bf16_f32 v16, v8, v9                              // 0000000065D0: D2680010 00021308
	v_cvt_pk_bf16_f32 v17, v10, v11                            // 0000000065D8: D2680011 0002170A
	v_cvt_pk_bf16_f32 v18, v12, v13                            // 0000000065E0: D2680012 00021B0C
	v_cvt_pk_bf16_f32 v19, v14, v15                            // 0000000065E8: D2680013 00021F0E
	s_nop 1                                                    // 0000000065F0: BF800001
	v_permlane16_swap_b32_e32 v16, v18                         // 0000000065F4: 7E20B312
	s_nop 1                                                    // 0000000065F8: BF800001
	v_permlane16_swap_b32_e32 v17, v19                         // 0000000065FC: 7E22B313
	s_nop 1                                                    // 000000006600: BF800001
	buffer_store_dwordx4 v[16:19], v226, s[4:7], 0 offen       // 000000006604: E07C1000 800110E2
	v_add_u32_e32 v226, s62, v226                              // 00000000660C: 69C5C43E
	v_add_u32_e32 v226, 0x100, v222                            // 000000006610: 69C5BCFF 00000100
	v_accvgpr_read_b32 v8, a64                                 // 000000006618: D3D84008 18000140
	v_accvgpr_read_b32 v9, a65                                 // 000000006620: D3D84009 18000141
	v_accvgpr_read_b32 v10, a66                                // 000000006628: D3D8400A 18000142
	v_accvgpr_read_b32 v11, a67                                // 000000006630: D3D8400B 18000143
	v_accvgpr_read_b32 v12, a72                                // 000000006638: D3D8400C 18000148
	v_accvgpr_read_b32 v13, a73                                // 000000006640: D3D8400D 18000149
	v_accvgpr_read_b32 v14, a74                                // 000000006648: D3D8400E 1800014A
	v_accvgpr_read_b32 v15, a75                                // 000000006650: D3D8400F 1800014B
	v_cvt_pk_bf16_f32 v16, v8, v9                              // 000000006658: D2680010 00021308
	v_cvt_pk_bf16_f32 v17, v10, v11                            // 000000006660: D2680011 0002170A
	v_cvt_pk_bf16_f32 v18, v12, v13                            // 000000006668: D2680012 00021B0C
	v_cvt_pk_bf16_f32 v19, v14, v15                            // 000000006670: D2680013 00021F0E
	s_nop 1                                                    // 000000006678: BF800001
	v_permlane16_swap_b32_e32 v16, v18                         // 00000000667C: 7E20B312
	s_nop 1                                                    // 000000006680: BF800001
	v_permlane16_swap_b32_e32 v17, v19                         // 000000006684: 7E22B313
	s_nop 1                                                    // 000000006688: BF800001
	buffer_store_dwordx4 v[16:19], v226, s[4:7], 0 offen       // 00000000668C: E07C1000 800110E2
	v_add_u32_e32 v226, s62, v226                              // 000000006694: 69C5C43E
	v_accvgpr_read_b32 v8, a68                                 // 000000006698: D3D84008 18000144
	v_accvgpr_read_b32 v9, a69                                 // 0000000066A0: D3D84009 18000145
	v_accvgpr_read_b32 v10, a70                                // 0000000066A8: D3D8400A 18000146
	v_accvgpr_read_b32 v11, a71                                // 0000000066B0: D3D8400B 18000147
	v_accvgpr_read_b32 v12, a76                                // 0000000066B8: D3D8400C 1800014C
	v_accvgpr_read_b32 v13, a77                                // 0000000066C0: D3D8400D 1800014D
	v_accvgpr_read_b32 v14, a78                                // 0000000066C8: D3D8400E 1800014E
	v_accvgpr_read_b32 v15, a79                                // 0000000066D0: D3D8400F 1800014F
	v_cvt_pk_bf16_f32 v16, v8, v9                              // 0000000066D8: D2680010 00021308
	v_cvt_pk_bf16_f32 v17, v10, v11                            // 0000000066E0: D2680011 0002170A
	v_cvt_pk_bf16_f32 v18, v12, v13                            // 0000000066E8: D2680012 00021B0C
	v_cvt_pk_bf16_f32 v19, v14, v15                            // 0000000066F0: D2680013 00021F0E
	s_nop 1                                                    // 0000000066F8: BF800001
	v_permlane16_swap_b32_e32 v16, v18                         // 0000000066FC: 7E20B312
	s_nop 1                                                    // 000000006700: BF800001
	v_permlane16_swap_b32_e32 v17, v19                         // 000000006704: 7E22B313
	s_nop 1                                                    // 000000006708: BF800001
	buffer_store_dwordx4 v[16:19], v226, s[4:7], 0 offen       // 00000000670C: E07C1000 800110E2
	v_add_u32_e32 v226, s62, v226                              // 000000006714: 69C5C43E
	v_accvgpr_read_b32 v8, a176                                // 000000006718: D3D84008 180001B0
	v_accvgpr_read_b32 v9, a177                                // 000000006720: D3D84009 180001B1
	v_accvgpr_read_b32 v10, a178                               // 000000006728: D3D8400A 180001B2
	v_accvgpr_read_b32 v11, a179                               // 000000006730: D3D8400B 180001B3
	v_accvgpr_read_b32 v12, a184                               // 000000006738: D3D8400C 180001B8
	v_accvgpr_read_b32 v13, a185                               // 000000006740: D3D8400D 180001B9
	v_accvgpr_read_b32 v14, a186                               // 000000006748: D3D8400E 180001BA
	v_accvgpr_read_b32 v15, a187                               // 000000006750: D3D8400F 180001BB
	v_cvt_pk_bf16_f32 v16, v8, v9                              // 000000006758: D2680010 00021308
	v_cvt_pk_bf16_f32 v17, v10, v11                            // 000000006760: D2680011 0002170A
	v_cvt_pk_bf16_f32 v18, v12, v13                            // 000000006768: D2680012 00021B0C
	v_cvt_pk_bf16_f32 v19, v14, v15                            // 000000006770: D2680013 00021F0E
	s_nop 1                                                    // 000000006778: BF800001
	v_permlane16_swap_b32_e32 v16, v18                         // 00000000677C: 7E20B312
	s_nop 1                                                    // 000000006780: BF800001
	v_permlane16_swap_b32_e32 v17, v19                         // 000000006784: 7E22B313
	s_nop 1                                                    // 000000006788: BF800001
	buffer_store_dwordx4 v[16:19], v226, s[4:7], 0 offen       // 00000000678C: E07C1000 800110E2
	v_add_u32_e32 v226, s62, v226                              // 000000006794: 69C5C43E
	v_accvgpr_read_b32 v8, a180                                // 000000006798: D3D84008 180001B4
	v_accvgpr_read_b32 v9, a181                                // 0000000067A0: D3D84009 180001B5
	v_accvgpr_read_b32 v10, a182                               // 0000000067A8: D3D8400A 180001B6
	v_accvgpr_read_b32 v11, a183                               // 0000000067B0: D3D8400B 180001B7
	v_accvgpr_read_b32 v12, a188                               // 0000000067B8: D3D8400C 180001BC
	v_accvgpr_read_b32 v13, a189                               // 0000000067C0: D3D8400D 180001BD
	v_accvgpr_read_b32 v14, a190                               // 0000000067C8: D3D8400E 180001BE
	v_accvgpr_read_b32 v15, a191                               // 0000000067D0: D3D8400F 180001BF
	v_cvt_pk_bf16_f32 v16, v8, v9                              // 0000000067D8: D2680010 00021308
	v_cvt_pk_bf16_f32 v17, v10, v11                            // 0000000067E0: D2680011 0002170A
	v_cvt_pk_bf16_f32 v18, v12, v13                            // 0000000067E8: D2680012 00021B0C
	v_cvt_pk_bf16_f32 v19, v14, v15                            // 0000000067F0: D2680013 00021F0E
	s_nop 1                                                    // 0000000067F8: BF800001
	v_permlane16_swap_b32_e32 v16, v18                         // 0000000067FC: 7E20B312
	s_nop 1                                                    // 000000006800: BF800001
	v_permlane16_swap_b32_e32 v17, v19                         // 000000006804: 7E22B313
	s_nop 1                                                    // 000000006808: BF800001
	buffer_store_dwordx4 v[16:19], v226, s[4:7], 0 offen       // 00000000680C: E07C1000 800110E2
	v_add_u32_e32 v226, s62, v226                              // 000000006814: 69C5C43E
	v_add_u32_e32 v226, 0x140, v222                            // 000000006818: 69C5BCFF 00000140
	v_accvgpr_read_b32 v8, a80                                 // 000000006820: D3D84008 18000150
	v_accvgpr_read_b32 v9, a81                                 // 000000006828: D3D84009 18000151
	v_accvgpr_read_b32 v10, a82                                // 000000006830: D3D8400A 18000152
	v_accvgpr_read_b32 v11, a83                                // 000000006838: D3D8400B 18000153
	v_accvgpr_read_b32 v12, a88                                // 000000006840: D3D8400C 18000158
	v_accvgpr_read_b32 v13, a89                                // 000000006848: D3D8400D 18000159
	v_accvgpr_read_b32 v14, a90                                // 000000006850: D3D8400E 1800015A
	v_accvgpr_read_b32 v15, a91                                // 000000006858: D3D8400F 1800015B
	v_cvt_pk_bf16_f32 v16, v8, v9                              // 000000006860: D2680010 00021308
	v_cvt_pk_bf16_f32 v17, v10, v11                            // 000000006868: D2680011 0002170A
	v_cvt_pk_bf16_f32 v18, v12, v13                            // 000000006870: D2680012 00021B0C
	v_cvt_pk_bf16_f32 v19, v14, v15                            // 000000006878: D2680013 00021F0E
	s_nop 1                                                    // 000000006880: BF800001
	v_permlane16_swap_b32_e32 v16, v18                         // 000000006884: 7E20B312
	s_nop 1                                                    // 000000006888: BF800001
	v_permlane16_swap_b32_e32 v17, v19                         // 00000000688C: 7E22B313
	s_nop 1                                                    // 000000006890: BF800001
	buffer_store_dwordx4 v[16:19], v226, s[4:7], 0 offen       // 000000006894: E07C1000 800110E2
	v_add_u32_e32 v226, s62, v226                              // 00000000689C: 69C5C43E
	v_accvgpr_read_b32 v8, a84                                 // 0000000068A0: D3D84008 18000154
	v_accvgpr_read_b32 v9, a85                                 // 0000000068A8: D3D84009 18000155
	v_accvgpr_read_b32 v10, a86                                // 0000000068B0: D3D8400A 18000156
	v_accvgpr_read_b32 v11, a87                                // 0000000068B8: D3D8400B 18000157
	v_accvgpr_read_b32 v12, a92                                // 0000000068C0: D3D8400C 1800015C
	v_accvgpr_read_b32 v13, a93                                // 0000000068C8: D3D8400D 1800015D
	v_accvgpr_read_b32 v14, a94                                // 0000000068D0: D3D8400E 1800015E
	v_accvgpr_read_b32 v15, a95                                // 0000000068D8: D3D8400F 1800015F
	v_cvt_pk_bf16_f32 v16, v8, v9                              // 0000000068E0: D2680010 00021308
	v_cvt_pk_bf16_f32 v17, v10, v11                            // 0000000068E8: D2680011 0002170A
	v_cvt_pk_bf16_f32 v18, v12, v13                            // 0000000068F0: D2680012 00021B0C
	v_cvt_pk_bf16_f32 v19, v14, v15                            // 0000000068F8: D2680013 00021F0E
	s_nop 1                                                    // 000000006900: BF800001
	v_permlane16_swap_b32_e32 v16, v18                         // 000000006904: 7E20B312
	s_nop 1                                                    // 000000006908: BF800001
	v_permlane16_swap_b32_e32 v17, v19                         // 00000000690C: 7E22B313
	s_nop 1                                                    // 000000006910: BF800001
	buffer_store_dwordx4 v[16:19], v226, s[4:7], 0 offen       // 000000006914: E07C1000 800110E2
	v_add_u32_e32 v226, s62, v226                              // 00000000691C: 69C5C43E
	v_accvgpr_read_b32 v8, a192                                // 000000006920: D3D84008 180001C0
	v_accvgpr_read_b32 v9, a193                                // 000000006928: D3D84009 180001C1
	v_accvgpr_read_b32 v10, a194                               // 000000006930: D3D8400A 180001C2
	v_accvgpr_read_b32 v11, a195                               // 000000006938: D3D8400B 180001C3
	v_accvgpr_read_b32 v12, a200                               // 000000006940: D3D8400C 180001C8
	v_accvgpr_read_b32 v13, a201                               // 000000006948: D3D8400D 180001C9
	v_accvgpr_read_b32 v14, a202                               // 000000006950: D3D8400E 180001CA
	v_accvgpr_read_b32 v15, a203                               // 000000006958: D3D8400F 180001CB
	v_cvt_pk_bf16_f32 v16, v8, v9                              // 000000006960: D2680010 00021308
	v_cvt_pk_bf16_f32 v17, v10, v11                            // 000000006968: D2680011 0002170A
	v_cvt_pk_bf16_f32 v18, v12, v13                            // 000000006970: D2680012 00021B0C
	v_cvt_pk_bf16_f32 v19, v14, v15                            // 000000006978: D2680013 00021F0E
	s_nop 1                                                    // 000000006980: BF800001
	v_permlane16_swap_b32_e32 v16, v18                         // 000000006984: 7E20B312
	s_nop 1                                                    // 000000006988: BF800001
	v_permlane16_swap_b32_e32 v17, v19                         // 00000000698C: 7E22B313
	s_nop 1                                                    // 000000006990: BF800001
	buffer_store_dwordx4 v[16:19], v226, s[4:7], 0 offen       // 000000006994: E07C1000 800110E2
	v_add_u32_e32 v226, s62, v226                              // 00000000699C: 69C5C43E
	v_accvgpr_read_b32 v8, a196                                // 0000000069A0: D3D84008 180001C4
	v_accvgpr_read_b32 v9, a197                                // 0000000069A8: D3D84009 180001C5
	v_accvgpr_read_b32 v10, a198                               // 0000000069B0: D3D8400A 180001C6
	v_accvgpr_read_b32 v11, a199                               // 0000000069B8: D3D8400B 180001C7
	v_accvgpr_read_b32 v12, a204                               // 0000000069C0: D3D8400C 180001CC
	v_accvgpr_read_b32 v13, a205                               // 0000000069C8: D3D8400D 180001CD
	v_accvgpr_read_b32 v14, a206                               // 0000000069D0: D3D8400E 180001CE
	v_accvgpr_read_b32 v15, a207                               // 0000000069D8: D3D8400F 180001CF
	v_cvt_pk_bf16_f32 v16, v8, v9                              // 0000000069E0: D2680010 00021308
	v_cvt_pk_bf16_f32 v17, v10, v11                            // 0000000069E8: D2680011 0002170A
	v_cvt_pk_bf16_f32 v18, v12, v13                            // 0000000069F0: D2680012 00021B0C
	v_cvt_pk_bf16_f32 v19, v14, v15                            // 0000000069F8: D2680013 00021F0E
	s_nop 1                                                    // 000000006A00: BF800001
	v_permlane16_swap_b32_e32 v16, v18                         // 000000006A04: 7E20B312
	s_nop 1                                                    // 000000006A08: BF800001
	v_permlane16_swap_b32_e32 v17, v19                         // 000000006A0C: 7E22B313
	s_nop 1                                                    // 000000006A10: BF800001
	buffer_store_dwordx4 v[16:19], v226, s[4:7], 0 offen       // 000000006A14: E07C1000 800110E2
	v_add_u32_e32 v226, s62, v226                              // 000000006A1C: 69C5C43E
	v_add_u32_e32 v226, 0x180, v222                            // 000000006A20: 69C5BCFF 00000180
	v_accvgpr_read_b32 v8, a96                                 // 000000006A28: D3D84008 18000160
	v_accvgpr_read_b32 v9, a97                                 // 000000006A30: D3D84009 18000161
	v_accvgpr_read_b32 v10, a98                                // 000000006A38: D3D8400A 18000162
	v_accvgpr_read_b32 v11, a99                                // 000000006A40: D3D8400B 18000163
	v_accvgpr_read_b32 v12, a104                               // 000000006A48: D3D8400C 18000168
	v_accvgpr_read_b32 v13, a105                               // 000000006A50: D3D8400D 18000169
	v_accvgpr_read_b32 v14, a106                               // 000000006A58: D3D8400E 1800016A
	v_accvgpr_read_b32 v15, a107                               // 000000006A60: D3D8400F 1800016B
	v_cvt_pk_bf16_f32 v16, v8, v9                              // 000000006A68: D2680010 00021308
	v_cvt_pk_bf16_f32 v17, v10, v11                            // 000000006A70: D2680011 0002170A
	v_cvt_pk_bf16_f32 v18, v12, v13                            // 000000006A78: D2680012 00021B0C
	v_cvt_pk_bf16_f32 v19, v14, v15                            // 000000006A80: D2680013 00021F0E
	s_nop 1                                                    // 000000006A88: BF800001
	v_permlane16_swap_b32_e32 v16, v18                         // 000000006A8C: 7E20B312
	s_nop 1                                                    // 000000006A90: BF800001
	v_permlane16_swap_b32_e32 v17, v19                         // 000000006A94: 7E22B313
	s_nop 1                                                    // 000000006A98: BF800001
	buffer_store_dwordx4 v[16:19], v226, s[4:7], 0 offen       // 000000006A9C: E07C1000 800110E2
	v_add_u32_e32 v226, s62, v226                              // 000000006AA4: 69C5C43E
	v_accvgpr_read_b32 v8, a100                                // 000000006AA8: D3D84008 18000164
	v_accvgpr_read_b32 v9, a101                                // 000000006AB0: D3D84009 18000165
	v_accvgpr_read_b32 v10, a102                               // 000000006AB8: D3D8400A 18000166
	v_accvgpr_read_b32 v11, a103                               // 000000006AC0: D3D8400B 18000167
	v_accvgpr_read_b32 v12, a108                               // 000000006AC8: D3D8400C 1800016C
	v_accvgpr_read_b32 v13, a109                               // 000000006AD0: D3D8400D 1800016D
	v_accvgpr_read_b32 v14, a110                               // 000000006AD8: D3D8400E 1800016E
	v_accvgpr_read_b32 v15, a111                               // 000000006AE0: D3D8400F 1800016F
	v_cvt_pk_bf16_f32 v16, v8, v9                              // 000000006AE8: D2680010 00021308
	v_cvt_pk_bf16_f32 v17, v10, v11                            // 000000006AF0: D2680011 0002170A
	v_cvt_pk_bf16_f32 v18, v12, v13                            // 000000006AF8: D2680012 00021B0C
	v_cvt_pk_bf16_f32 v19, v14, v15                            // 000000006B00: D2680013 00021F0E
	s_nop 1                                                    // 000000006B08: BF800001
	v_permlane16_swap_b32_e32 v16, v18                         // 000000006B0C: 7E20B312
	s_nop 1                                                    // 000000006B10: BF800001
	v_permlane16_swap_b32_e32 v17, v19                         // 000000006B14: 7E22B313
	s_nop 1                                                    // 000000006B18: BF800001
	buffer_store_dwordx4 v[16:19], v226, s[4:7], 0 offen       // 000000006B1C: E07C1000 800110E2
	v_add_u32_e32 v226, s62, v226                              // 000000006B24: 69C5C43E
	v_accvgpr_read_b32 v8, a208                                // 000000006B28: D3D84008 180001D0
	v_accvgpr_read_b32 v9, a209                                // 000000006B30: D3D84009 180001D1
	v_accvgpr_read_b32 v10, a210                               // 000000006B38: D3D8400A 180001D2
	v_accvgpr_read_b32 v11, a211                               // 000000006B40: D3D8400B 180001D3
	v_accvgpr_read_b32 v12, a216                               // 000000006B48: D3D8400C 180001D8
	v_accvgpr_read_b32 v13, a217                               // 000000006B50: D3D8400D 180001D9
	v_accvgpr_read_b32 v14, a218                               // 000000006B58: D3D8400E 180001DA
	v_accvgpr_read_b32 v15, a219                               // 000000006B60: D3D8400F 180001DB
	v_cvt_pk_bf16_f32 v16, v8, v9                              // 000000006B68: D2680010 00021308
	v_cvt_pk_bf16_f32 v17, v10, v11                            // 000000006B70: D2680011 0002170A
	v_cvt_pk_bf16_f32 v18, v12, v13                            // 000000006B78: D2680012 00021B0C
	v_cvt_pk_bf16_f32 v19, v14, v15                            // 000000006B80: D2680013 00021F0E
	s_nop 1                                                    // 000000006B88: BF800001
	v_permlane16_swap_b32_e32 v16, v18                         // 000000006B8C: 7E20B312
	s_nop 1                                                    // 000000006B90: BF800001
	v_permlane16_swap_b32_e32 v17, v19                         // 000000006B94: 7E22B313
	s_nop 1                                                    // 000000006B98: BF800001
	buffer_store_dwordx4 v[16:19], v226, s[4:7], 0 offen       // 000000006B9C: E07C1000 800110E2
	v_add_u32_e32 v226, s62, v226                              // 000000006BA4: 69C5C43E
	v_accvgpr_read_b32 v8, a212                                // 000000006BA8: D3D84008 180001D4
	v_accvgpr_read_b32 v9, a213                                // 000000006BB0: D3D84009 180001D5
	v_accvgpr_read_b32 v10, a214                               // 000000006BB8: D3D8400A 180001D6
	v_accvgpr_read_b32 v11, a215                               // 000000006BC0: D3D8400B 180001D7
	v_accvgpr_read_b32 v12, a220                               // 000000006BC8: D3D8400C 180001DC
	v_accvgpr_read_b32 v13, a221                               // 000000006BD0: D3D8400D 180001DD
	v_accvgpr_read_b32 v14, a222                               // 000000006BD8: D3D8400E 180001DE
	v_accvgpr_read_b32 v15, a223                               // 000000006BE0: D3D8400F 180001DF
	v_cvt_pk_bf16_f32 v16, v8, v9                              // 000000006BE8: D2680010 00021308
	v_cvt_pk_bf16_f32 v17, v10, v11                            // 000000006BF0: D2680011 0002170A
	v_cvt_pk_bf16_f32 v18, v12, v13                            // 000000006BF8: D2680012 00021B0C
	v_cvt_pk_bf16_f32 v19, v14, v15                            // 000000006C00: D2680013 00021F0E
	s_nop 1                                                    // 000000006C08: BF800001
	v_permlane16_swap_b32_e32 v16, v18                         // 000000006C0C: 7E20B312
	s_nop 1                                                    // 000000006C10: BF800001
	v_permlane16_swap_b32_e32 v17, v19                         // 000000006C14: 7E22B313
	s_nop 1                                                    // 000000006C18: BF800001
	buffer_store_dwordx4 v[16:19], v226, s[4:7], 0 offen       // 000000006C1C: E07C1000 800110E2
	v_add_u32_e32 v226, s62, v226                              // 000000006C24: 69C5C43E
	s_branch label_13AD                                        // 000000006C28: BF8203A2

0000000000006c2c <label_100B>:
	s_mul_i32 s62, s36, 16                                     // 000000006C2C: 923E9024
	s_cmp_lt_i32 s60, s44                                      // 000000006C30: BF042C3C
	s_cbranch_scc0 label_13AD                                  // 000000006C34: BF84039F
	s_addk_i32 s60, 0x20                                       // 000000006C38: B73C0020
	v_add_u32_e32 v226, 0, v222                                // 000000006C3C: 69C5BC80
	v_accvgpr_read_b32 v8, a0                                  // 000000006C40: D3D84008 18000100
	v_accvgpr_read_b32 v9, a1                                  // 000000006C48: D3D84009 18000101
	v_accvgpr_read_b32 v10, a2                                 // 000000006C50: D3D8400A 18000102
	v_accvgpr_read_b32 v11, a3                                 // 000000006C58: D3D8400B 18000103
	v_accvgpr_read_b32 v12, a8                                 // 000000006C60: D3D8400C 18000108
	v_accvgpr_read_b32 v13, a9                                 // 000000006C68: D3D8400D 18000109
	v_accvgpr_read_b32 v14, a10                                // 000000006C70: D3D8400E 1800010A
	v_accvgpr_read_b32 v15, a11                                // 000000006C78: D3D8400F 1800010B
	v_cvt_pk_bf16_f32 v16, v8, v9                              // 000000006C80: D2680010 00021308
	v_cvt_pk_bf16_f32 v17, v10, v11                            // 000000006C88: D2680011 0002170A
	v_cvt_pk_bf16_f32 v18, v12, v13                            // 000000006C90: D2680012 00021B0C
	v_cvt_pk_bf16_f32 v19, v14, v15                            // 000000006C98: D2680013 00021F0E
	s_nop 1                                                    // 000000006CA0: BF800001
	v_permlane16_swap_b32_e32 v16, v18                         // 000000006CA4: 7E20B312
	s_nop 1                                                    // 000000006CA8: BF800001
	v_permlane16_swap_b32_e32 v17, v19                         // 000000006CAC: 7E22B313
	s_nop 1                                                    // 000000006CB0: BF800001
	buffer_store_dwordx4 v[16:19], v226, s[4:7], 0 offen       // 000000006CB4: E07C1000 800110E2
	v_add_u32_e32 v226, s62, v226                              // 000000006CBC: 69C5C43E
	v_accvgpr_read_b32 v8, a4                                  // 000000006CC0: D3D84008 18000104
	v_accvgpr_read_b32 v9, a5                                  // 000000006CC8: D3D84009 18000105
	v_accvgpr_read_b32 v10, a6                                 // 000000006CD0: D3D8400A 18000106
	v_accvgpr_read_b32 v11, a7                                 // 000000006CD8: D3D8400B 18000107
	v_accvgpr_read_b32 v12, a12                                // 000000006CE0: D3D8400C 1800010C
	v_accvgpr_read_b32 v13, a13                                // 000000006CE8: D3D8400D 1800010D
	v_accvgpr_read_b32 v14, a14                                // 000000006CF0: D3D8400E 1800010E
	v_accvgpr_read_b32 v15, a15                                // 000000006CF8: D3D8400F 1800010F
	v_cvt_pk_bf16_f32 v16, v8, v9                              // 000000006D00: D2680010 00021308
	v_cvt_pk_bf16_f32 v17, v10, v11                            // 000000006D08: D2680011 0002170A
	v_cvt_pk_bf16_f32 v18, v12, v13                            // 000000006D10: D2680012 00021B0C
	v_cvt_pk_bf16_f32 v19, v14, v15                            // 000000006D18: D2680013 00021F0E
	s_nop 1                                                    // 000000006D20: BF800001
	v_permlane16_swap_b32_e32 v16, v18                         // 000000006D24: 7E20B312
	s_nop 1                                                    // 000000006D28: BF800001
	v_permlane16_swap_b32_e32 v17, v19                         // 000000006D2C: 7E22B313
	s_nop 1                                                    // 000000006D30: BF800001
	buffer_store_dwordx4 v[16:19], v226, s[4:7], 0 offen       // 000000006D34: E07C1000 800110E2
	v_add_u32_e32 v226, s62, v226                              // 000000006D3C: 69C5C43E
	v_accvgpr_read_b32 v8, a112                                // 000000006D40: D3D84008 18000170
	v_accvgpr_read_b32 v9, a113                                // 000000006D48: D3D84009 18000171
	v_accvgpr_read_b32 v10, a114                               // 000000006D50: D3D8400A 18000172
	v_accvgpr_read_b32 v11, a115                               // 000000006D58: D3D8400B 18000173
	v_accvgpr_read_b32 v12, a120                               // 000000006D60: D3D8400C 18000178
	v_accvgpr_read_b32 v13, a121                               // 000000006D68: D3D8400D 18000179
	v_accvgpr_read_b32 v14, a122                               // 000000006D70: D3D8400E 1800017A
	v_accvgpr_read_b32 v15, a123                               // 000000006D78: D3D8400F 1800017B
	v_cvt_pk_bf16_f32 v16, v8, v9                              // 000000006D80: D2680010 00021308
	v_cvt_pk_bf16_f32 v17, v10, v11                            // 000000006D88: D2680011 0002170A
	v_cvt_pk_bf16_f32 v18, v12, v13                            // 000000006D90: D2680012 00021B0C
	v_cvt_pk_bf16_f32 v19, v14, v15                            // 000000006D98: D2680013 00021F0E
	s_nop 1                                                    // 000000006DA0: BF800001
	v_permlane16_swap_b32_e32 v16, v18                         // 000000006DA4: 7E20B312
	s_nop 1                                                    // 000000006DA8: BF800001
	v_permlane16_swap_b32_e32 v17, v19                         // 000000006DAC: 7E22B313
	s_nop 1                                                    // 000000006DB0: BF800001
	buffer_store_dwordx4 v[16:19], v226, s[4:7], 0 offen       // 000000006DB4: E07C1000 800110E2
	v_add_u32_e32 v226, s62, v226                              // 000000006DBC: 69C5C43E
	v_accvgpr_read_b32 v8, a116                                // 000000006DC0: D3D84008 18000174
	v_accvgpr_read_b32 v9, a117                                // 000000006DC8: D3D84009 18000175
	v_accvgpr_read_b32 v10, a118                               // 000000006DD0: D3D8400A 18000176
	v_accvgpr_read_b32 v11, a119                               // 000000006DD8: D3D8400B 18000177
	v_accvgpr_read_b32 v12, a124                               // 000000006DE0: D3D8400C 1800017C
	v_accvgpr_read_b32 v13, a125                               // 000000006DE8: D3D8400D 1800017D
	v_accvgpr_read_b32 v14, a126                               // 000000006DF0: D3D8400E 1800017E
	v_accvgpr_read_b32 v15, a127                               // 000000006DF8: D3D8400F 1800017F
	v_cvt_pk_bf16_f32 v16, v8, v9                              // 000000006E00: D2680010 00021308
	v_cvt_pk_bf16_f32 v17, v10, v11                            // 000000006E08: D2680011 0002170A
	v_cvt_pk_bf16_f32 v18, v12, v13                            // 000000006E10: D2680012 00021B0C
	v_cvt_pk_bf16_f32 v19, v14, v15                            // 000000006E18: D2680013 00021F0E
	s_nop 1                                                    // 000000006E20: BF800001
	v_permlane16_swap_b32_e32 v16, v18                         // 000000006E24: 7E20B312
	s_nop 1                                                    // 000000006E28: BF800001
	v_permlane16_swap_b32_e32 v17, v19                         // 000000006E2C: 7E22B313
	s_nop 1                                                    // 000000006E30: BF800001
	buffer_store_dwordx4 v[16:19], v226, s[4:7], 0 offen       // 000000006E34: E07C1000 800110E2
	v_add_u32_e32 v226, s62, v226                              // 000000006E3C: 69C5C43E
	s_cmp_lt_i32 s60, s44                                      // 000000006E40: BF042C3C
	s_cbranch_scc0 label_13AD                                  // 000000006E44: BF84031B
	s_addk_i32 s60, 0x20                                       // 000000006E48: B73C0020
	v_add_u32_e32 v226, 64, v222                               // 000000006E4C: 69C5BCC0
	v_accvgpr_read_b32 v8, a16                                 // 000000006E50: D3D84008 18000110
	v_accvgpr_read_b32 v9, a17                                 // 000000006E58: D3D84009 18000111
	v_accvgpr_read_b32 v10, a18                                // 000000006E60: D3D8400A 18000112
	v_accvgpr_read_b32 v11, a19                                // 000000006E68: D3D8400B 18000113
	v_accvgpr_read_b32 v12, a24                                // 000000006E70: D3D8400C 18000118
	v_accvgpr_read_b32 v13, a25                                // 000000006E78: D3D8400D 18000119
	v_accvgpr_read_b32 v14, a26                                // 000000006E80: D3D8400E 1800011A
	v_accvgpr_read_b32 v15, a27                                // 000000006E88: D3D8400F 1800011B
	v_cvt_pk_bf16_f32 v16, v8, v9                              // 000000006E90: D2680010 00021308
	v_cvt_pk_bf16_f32 v17, v10, v11                            // 000000006E98: D2680011 0002170A
	v_cvt_pk_bf16_f32 v18, v12, v13                            // 000000006EA0: D2680012 00021B0C
	v_cvt_pk_bf16_f32 v19, v14, v15                            // 000000006EA8: D2680013 00021F0E
	s_nop 1                                                    // 000000006EB0: BF800001
	v_permlane16_swap_b32_e32 v16, v18                         // 000000006EB4: 7E20B312
	s_nop 1                                                    // 000000006EB8: BF800001
	v_permlane16_swap_b32_e32 v17, v19                         // 000000006EBC: 7E22B313
	s_nop 1                                                    // 000000006EC0: BF800001
	buffer_store_dwordx4 v[16:19], v226, s[4:7], 0 offen       // 000000006EC4: E07C1000 800110E2
	v_add_u32_e32 v226, s62, v226                              // 000000006ECC: 69C5C43E
	v_accvgpr_read_b32 v8, a20                                 // 000000006ED0: D3D84008 18000114
	v_accvgpr_read_b32 v9, a21                                 // 000000006ED8: D3D84009 18000115
	v_accvgpr_read_b32 v10, a22                                // 000000006EE0: D3D8400A 18000116
	v_accvgpr_read_b32 v11, a23                                // 000000006EE8: D3D8400B 18000117
	v_accvgpr_read_b32 v12, a28                                // 000000006EF0: D3D8400C 1800011C
	v_accvgpr_read_b32 v13, a29                                // 000000006EF8: D3D8400D 1800011D
	v_accvgpr_read_b32 v14, a30                                // 000000006F00: D3D8400E 1800011E
	v_accvgpr_read_b32 v15, a31                                // 000000006F08: D3D8400F 1800011F
	v_cvt_pk_bf16_f32 v16, v8, v9                              // 000000006F10: D2680010 00021308
	v_cvt_pk_bf16_f32 v17, v10, v11                            // 000000006F18: D2680011 0002170A
	v_cvt_pk_bf16_f32 v18, v12, v13                            // 000000006F20: D2680012 00021B0C
	v_cvt_pk_bf16_f32 v19, v14, v15                            // 000000006F28: D2680013 00021F0E
	s_nop 1                                                    // 000000006F30: BF800001
	v_permlane16_swap_b32_e32 v16, v18                         // 000000006F34: 7E20B312
	s_nop 1                                                    // 000000006F38: BF800001
	v_permlane16_swap_b32_e32 v17, v19                         // 000000006F3C: 7E22B313
	s_nop 1                                                    // 000000006F40: BF800001
	buffer_store_dwordx4 v[16:19], v226, s[4:7], 0 offen       // 000000006F44: E07C1000 800110E2
	v_add_u32_e32 v226, s62, v226                              // 000000006F4C: 69C5C43E
	v_accvgpr_read_b32 v8, a128                                // 000000006F50: D3D84008 18000180
	v_accvgpr_read_b32 v9, a129                                // 000000006F58: D3D84009 18000181
	v_accvgpr_read_b32 v10, a130                               // 000000006F60: D3D8400A 18000182
	v_accvgpr_read_b32 v11, a131                               // 000000006F68: D3D8400B 18000183
	v_accvgpr_read_b32 v12, a136                               // 000000006F70: D3D8400C 18000188
	v_accvgpr_read_b32 v13, a137                               // 000000006F78: D3D8400D 18000189
	v_accvgpr_read_b32 v14, a138                               // 000000006F80: D3D8400E 1800018A
	v_accvgpr_read_b32 v15, a139                               // 000000006F88: D3D8400F 1800018B
	v_cvt_pk_bf16_f32 v16, v8, v9                              // 000000006F90: D2680010 00021308
	v_cvt_pk_bf16_f32 v17, v10, v11                            // 000000006F98: D2680011 0002170A
	v_cvt_pk_bf16_f32 v18, v12, v13                            // 000000006FA0: D2680012 00021B0C
	v_cvt_pk_bf16_f32 v19, v14, v15                            // 000000006FA8: D2680013 00021F0E
	s_nop 1                                                    // 000000006FB0: BF800001
	v_permlane16_swap_b32_e32 v16, v18                         // 000000006FB4: 7E20B312
	s_nop 1                                                    // 000000006FB8: BF800001
	v_permlane16_swap_b32_e32 v17, v19                         // 000000006FBC: 7E22B313
	s_nop 1                                                    // 000000006FC0: BF800001
	buffer_store_dwordx4 v[16:19], v226, s[4:7], 0 offen       // 000000006FC4: E07C1000 800110E2
	v_add_u32_e32 v226, s62, v226                              // 000000006FCC: 69C5C43E
	v_accvgpr_read_b32 v8, a132                                // 000000006FD0: D3D84008 18000184
	v_accvgpr_read_b32 v9, a133                                // 000000006FD8: D3D84009 18000185
	v_accvgpr_read_b32 v10, a134                               // 000000006FE0: D3D8400A 18000186
	v_accvgpr_read_b32 v11, a135                               // 000000006FE8: D3D8400B 18000187
	v_accvgpr_read_b32 v12, a140                               // 000000006FF0: D3D8400C 1800018C
	v_accvgpr_read_b32 v13, a141                               // 000000006FF8: D3D8400D 1800018D
	v_accvgpr_read_b32 v14, a142                               // 000000007000: D3D8400E 1800018E
	v_accvgpr_read_b32 v15, a143                               // 000000007008: D3D8400F 1800018F
	v_cvt_pk_bf16_f32 v16, v8, v9                              // 000000007010: D2680010 00021308
	v_cvt_pk_bf16_f32 v17, v10, v11                            // 000000007018: D2680011 0002170A
	v_cvt_pk_bf16_f32 v18, v12, v13                            // 000000007020: D2680012 00021B0C
	v_cvt_pk_bf16_f32 v19, v14, v15                            // 000000007028: D2680013 00021F0E
	s_nop 1                                                    // 000000007030: BF800001
	v_permlane16_swap_b32_e32 v16, v18                         // 000000007034: 7E20B312
	s_nop 1                                                    // 000000007038: BF800001
	v_permlane16_swap_b32_e32 v17, v19                         // 00000000703C: 7E22B313
	s_nop 1                                                    // 000000007040: BF800001
	buffer_store_dwordx4 v[16:19], v226, s[4:7], 0 offen       // 000000007044: E07C1000 800110E2
	v_add_u32_e32 v226, s62, v226                              // 00000000704C: 69C5C43E
	s_cmp_lt_i32 s60, s44                                      // 000000007050: BF042C3C
	s_cbranch_scc0 label_13AD                                  // 000000007054: BF840297
	s_addk_i32 s60, 0x20                                       // 000000007058: B73C0020
	v_add_u32_e32 v226, 0x80, v222                             // 00000000705C: 69C5BCFF 00000080
	v_accvgpr_read_b32 v8, a32                                 // 000000007064: D3D84008 18000120
	v_accvgpr_read_b32 v9, a33                                 // 00000000706C: D3D84009 18000121
	v_accvgpr_read_b32 v10, a34                                // 000000007074: D3D8400A 18000122
	v_accvgpr_read_b32 v11, a35                                // 00000000707C: D3D8400B 18000123
	v_accvgpr_read_b32 v12, a40                                // 000000007084: D3D8400C 18000128
	v_accvgpr_read_b32 v13, a41                                // 00000000708C: D3D8400D 18000129
	v_accvgpr_read_b32 v14, a42                                // 000000007094: D3D8400E 1800012A
	v_accvgpr_read_b32 v15, a43                                // 00000000709C: D3D8400F 1800012B
	v_cvt_pk_bf16_f32 v16, v8, v9                              // 0000000070A4: D2680010 00021308
	v_cvt_pk_bf16_f32 v17, v10, v11                            // 0000000070AC: D2680011 0002170A
	v_cvt_pk_bf16_f32 v18, v12, v13                            // 0000000070B4: D2680012 00021B0C
	v_cvt_pk_bf16_f32 v19, v14, v15                            // 0000000070BC: D2680013 00021F0E
	s_nop 1                                                    // 0000000070C4: BF800001
	v_permlane16_swap_b32_e32 v16, v18                         // 0000000070C8: 7E20B312
	s_nop 1                                                    // 0000000070CC: BF800001
	v_permlane16_swap_b32_e32 v17, v19                         // 0000000070D0: 7E22B313
	s_nop 1                                                    // 0000000070D4: BF800001
	buffer_store_dwordx4 v[16:19], v226, s[4:7], 0 offen       // 0000000070D8: E07C1000 800110E2
	v_add_u32_e32 v226, s62, v226                              // 0000000070E0: 69C5C43E
	v_accvgpr_read_b32 v8, a36                                 // 0000000070E4: D3D84008 18000124
	v_accvgpr_read_b32 v9, a37                                 // 0000000070EC: D3D84009 18000125
	v_accvgpr_read_b32 v10, a38                                // 0000000070F4: D3D8400A 18000126
	v_accvgpr_read_b32 v11, a39                                // 0000000070FC: D3D8400B 18000127
	v_accvgpr_read_b32 v12, a44                                // 000000007104: D3D8400C 1800012C
	v_accvgpr_read_b32 v13, a45                                // 00000000710C: D3D8400D 1800012D
	v_accvgpr_read_b32 v14, a46                                // 000000007114: D3D8400E 1800012E
	v_accvgpr_read_b32 v15, a47                                // 00000000711C: D3D8400F 1800012F
	v_cvt_pk_bf16_f32 v16, v8, v9                              // 000000007124: D2680010 00021308
	v_cvt_pk_bf16_f32 v17, v10, v11                            // 00000000712C: D2680011 0002170A
	v_cvt_pk_bf16_f32 v18, v12, v13                            // 000000007134: D2680012 00021B0C
	v_cvt_pk_bf16_f32 v19, v14, v15                            // 00000000713C: D2680013 00021F0E
	s_nop 1                                                    // 000000007144: BF800001
	v_permlane16_swap_b32_e32 v16, v18                         // 000000007148: 7E20B312
	s_nop 1                                                    // 00000000714C: BF800001
	v_permlane16_swap_b32_e32 v17, v19                         // 000000007150: 7E22B313
	s_nop 1                                                    // 000000007154: BF800001
	buffer_store_dwordx4 v[16:19], v226, s[4:7], 0 offen       // 000000007158: E07C1000 800110E2
	v_add_u32_e32 v226, s62, v226                              // 000000007160: 69C5C43E
	v_accvgpr_read_b32 v8, a144                                // 000000007164: D3D84008 18000190
	v_accvgpr_read_b32 v9, a145                                // 00000000716C: D3D84009 18000191
	v_accvgpr_read_b32 v10, a146                               // 000000007174: D3D8400A 18000192
	v_accvgpr_read_b32 v11, a147                               // 00000000717C: D3D8400B 18000193
	v_accvgpr_read_b32 v12, a152                               // 000000007184: D3D8400C 18000198
	v_accvgpr_read_b32 v13, a153                               // 00000000718C: D3D8400D 18000199
	v_accvgpr_read_b32 v14, a154                               // 000000007194: D3D8400E 1800019A
	v_accvgpr_read_b32 v15, a155                               // 00000000719C: D3D8400F 1800019B
	v_cvt_pk_bf16_f32 v16, v8, v9                              // 0000000071A4: D2680010 00021308
	v_cvt_pk_bf16_f32 v17, v10, v11                            // 0000000071AC: D2680011 0002170A
	v_cvt_pk_bf16_f32 v18, v12, v13                            // 0000000071B4: D2680012 00021B0C
	v_cvt_pk_bf16_f32 v19, v14, v15                            // 0000000071BC: D2680013 00021F0E
	s_nop 1                                                    // 0000000071C4: BF800001
	v_permlane16_swap_b32_e32 v16, v18                         // 0000000071C8: 7E20B312
	s_nop 1                                                    // 0000000071CC: BF800001
	v_permlane16_swap_b32_e32 v17, v19                         // 0000000071D0: 7E22B313
	s_nop 1                                                    // 0000000071D4: BF800001
	buffer_store_dwordx4 v[16:19], v226, s[4:7], 0 offen       // 0000000071D8: E07C1000 800110E2
	v_add_u32_e32 v226, s62, v226                              // 0000000071E0: 69C5C43E
	v_accvgpr_read_b32 v8, a148                                // 0000000071E4: D3D84008 18000194
	v_accvgpr_read_b32 v9, a149                                // 0000000071EC: D3D84009 18000195
	v_accvgpr_read_b32 v10, a150                               // 0000000071F4: D3D8400A 18000196
	v_accvgpr_read_b32 v11, a151                               // 0000000071FC: D3D8400B 18000197
	v_accvgpr_read_b32 v12, a156                               // 000000007204: D3D8400C 1800019C
	v_accvgpr_read_b32 v13, a157                               // 00000000720C: D3D8400D 1800019D
	v_accvgpr_read_b32 v14, a158                               // 000000007214: D3D8400E 1800019E
	v_accvgpr_read_b32 v15, a159                               // 00000000721C: D3D8400F 1800019F
	v_cvt_pk_bf16_f32 v16, v8, v9                              // 000000007224: D2680010 00021308
	v_cvt_pk_bf16_f32 v17, v10, v11                            // 00000000722C: D2680011 0002170A
	v_cvt_pk_bf16_f32 v18, v12, v13                            // 000000007234: D2680012 00021B0C
	v_cvt_pk_bf16_f32 v19, v14, v15                            // 00000000723C: D2680013 00021F0E
	s_nop 1                                                    // 000000007244: BF800001
	v_permlane16_swap_b32_e32 v16, v18                         // 000000007248: 7E20B312
	s_nop 1                                                    // 00000000724C: BF800001
	v_permlane16_swap_b32_e32 v17, v19                         // 000000007250: 7E22B313
	s_nop 1                                                    // 000000007254: BF800001
	buffer_store_dwordx4 v[16:19], v226, s[4:7], 0 offen       // 000000007258: E07C1000 800110E2
	v_add_u32_e32 v226, s62, v226                              // 000000007260: 69C5C43E
	s_cmp_lt_i32 s60, s44                                      // 000000007264: BF042C3C
	s_cbranch_scc0 label_13AD                                  // 000000007268: BF840212
	s_addk_i32 s60, 0x20                                       // 00000000726C: B73C0020
	v_add_u32_e32 v226, 0xc0, v222                             // 000000007270: 69C5BCFF 000000C0
	v_accvgpr_read_b32 v8, a48                                 // 000000007278: D3D84008 18000130
	v_accvgpr_read_b32 v9, a49                                 // 000000007280: D3D84009 18000131
	v_accvgpr_read_b32 v10, a50                                // 000000007288: D3D8400A 18000132
	v_accvgpr_read_b32 v11, a51                                // 000000007290: D3D8400B 18000133
	v_accvgpr_read_b32 v12, a56                                // 000000007298: D3D8400C 18000138
	v_accvgpr_read_b32 v13, a57                                // 0000000072A0: D3D8400D 18000139
	v_accvgpr_read_b32 v14, a58                                // 0000000072A8: D3D8400E 1800013A
	v_accvgpr_read_b32 v15, a59                                // 0000000072B0: D3D8400F 1800013B
	v_cvt_pk_bf16_f32 v16, v8, v9                              // 0000000072B8: D2680010 00021308
	v_cvt_pk_bf16_f32 v17, v10, v11                            // 0000000072C0: D2680011 0002170A
	v_cvt_pk_bf16_f32 v18, v12, v13                            // 0000000072C8: D2680012 00021B0C
	v_cvt_pk_bf16_f32 v19, v14, v15                            // 0000000072D0: D2680013 00021F0E
	s_nop 1                                                    // 0000000072D8: BF800001
	v_permlane16_swap_b32_e32 v16, v18                         // 0000000072DC: 7E20B312
	s_nop 1                                                    // 0000000072E0: BF800001
	v_permlane16_swap_b32_e32 v17, v19                         // 0000000072E4: 7E22B313
	s_nop 1                                                    // 0000000072E8: BF800001
	buffer_store_dwordx4 v[16:19], v226, s[4:7], 0 offen       // 0000000072EC: E07C1000 800110E2
	v_add_u32_e32 v226, s62, v226                              // 0000000072F4: 69C5C43E
	v_accvgpr_read_b32 v8, a52                                 // 0000000072F8: D3D84008 18000134
	v_accvgpr_read_b32 v9, a53                                 // 000000007300: D3D84009 18000135
	v_accvgpr_read_b32 v10, a54                                // 000000007308: D3D8400A 18000136
	v_accvgpr_read_b32 v11, a55                                // 000000007310: D3D8400B 18000137
	v_accvgpr_read_b32 v12, a60                                // 000000007318: D3D8400C 1800013C
	v_accvgpr_read_b32 v13, a61                                // 000000007320: D3D8400D 1800013D
	v_accvgpr_read_b32 v14, a62                                // 000000007328: D3D8400E 1800013E
	v_accvgpr_read_b32 v15, a63                                // 000000007330: D3D8400F 1800013F
	v_cvt_pk_bf16_f32 v16, v8, v9                              // 000000007338: D2680010 00021308
	v_cvt_pk_bf16_f32 v17, v10, v11                            // 000000007340: D2680011 0002170A
	v_cvt_pk_bf16_f32 v18, v12, v13                            // 000000007348: D2680012 00021B0C
	v_cvt_pk_bf16_f32 v19, v14, v15                            // 000000007350: D2680013 00021F0E
	s_nop 1                                                    // 000000007358: BF800001
	v_permlane16_swap_b32_e32 v16, v18                         // 00000000735C: 7E20B312
	s_nop 1                                                    // 000000007360: BF800001
	v_permlane16_swap_b32_e32 v17, v19                         // 000000007364: 7E22B313
	s_nop 1                                                    // 000000007368: BF800001
	buffer_store_dwordx4 v[16:19], v226, s[4:7], 0 offen       // 00000000736C: E07C1000 800110E2
	v_add_u32_e32 v226, s62, v226                              // 000000007374: 69C5C43E
	v_accvgpr_read_b32 v8, a160                                // 000000007378: D3D84008 180001A0
	v_accvgpr_read_b32 v9, a161                                // 000000007380: D3D84009 180001A1
	v_accvgpr_read_b32 v10, a162                               // 000000007388: D3D8400A 180001A2
	v_accvgpr_read_b32 v11, a163                               // 000000007390: D3D8400B 180001A3
	v_accvgpr_read_b32 v12, a168                               // 000000007398: D3D8400C 180001A8
	v_accvgpr_read_b32 v13, a169                               // 0000000073A0: D3D8400D 180001A9
	v_accvgpr_read_b32 v14, a170                               // 0000000073A8: D3D8400E 180001AA
	v_accvgpr_read_b32 v15, a171                               // 0000000073B0: D3D8400F 180001AB
	v_cvt_pk_bf16_f32 v16, v8, v9                              // 0000000073B8: D2680010 00021308
	v_cvt_pk_bf16_f32 v17, v10, v11                            // 0000000073C0: D2680011 0002170A
	v_cvt_pk_bf16_f32 v18, v12, v13                            // 0000000073C8: D2680012 00021B0C
	v_cvt_pk_bf16_f32 v19, v14, v15                            // 0000000073D0: D2680013 00021F0E
	s_nop 1                                                    // 0000000073D8: BF800001
	v_permlane16_swap_b32_e32 v16, v18                         // 0000000073DC: 7E20B312
	s_nop 1                                                    // 0000000073E0: BF800001
	v_permlane16_swap_b32_e32 v17, v19                         // 0000000073E4: 7E22B313
	s_nop 1                                                    // 0000000073E8: BF800001
	buffer_store_dwordx4 v[16:19], v226, s[4:7], 0 offen       // 0000000073EC: E07C1000 800110E2
	v_add_u32_e32 v226, s62, v226                              // 0000000073F4: 69C5C43E
	v_accvgpr_read_b32 v8, a164                                // 0000000073F8: D3D84008 180001A4
	v_accvgpr_read_b32 v9, a165                                // 000000007400: D3D84009 180001A5
	v_accvgpr_read_b32 v10, a166                               // 000000007408: D3D8400A 180001A6
	v_accvgpr_read_b32 v11, a167                               // 000000007410: D3D8400B 180001A7
	v_accvgpr_read_b32 v12, a172                               // 000000007418: D3D8400C 180001AC
	v_accvgpr_read_b32 v13, a173                               // 000000007420: D3D8400D 180001AD
	v_accvgpr_read_b32 v14, a174                               // 000000007428: D3D8400E 180001AE
	v_accvgpr_read_b32 v15, a175                               // 000000007430: D3D8400F 180001AF
	v_cvt_pk_bf16_f32 v16, v8, v9                              // 000000007438: D2680010 00021308
	v_cvt_pk_bf16_f32 v17, v10, v11                            // 000000007440: D2680011 0002170A
	v_cvt_pk_bf16_f32 v18, v12, v13                            // 000000007448: D2680012 00021B0C
	v_cvt_pk_bf16_f32 v19, v14, v15                            // 000000007450: D2680013 00021F0E
	s_nop 1                                                    // 000000007458: BF800001
	v_permlane16_swap_b32_e32 v16, v18                         // 00000000745C: 7E20B312
	s_nop 1                                                    // 000000007460: BF800001
	v_permlane16_swap_b32_e32 v17, v19                         // 000000007464: 7E22B313
	s_nop 1                                                    // 000000007468: BF800001
	buffer_store_dwordx4 v[16:19], v226, s[4:7], 0 offen       // 00000000746C: E07C1000 800110E2
	v_add_u32_e32 v226, s62, v226                              // 000000007474: 69C5C43E
	s_cmp_lt_i32 s60, s44                                      // 000000007478: BF042C3C
	s_cbranch_scc0 label_13AD                                  // 00000000747C: BF84018D
	s_addk_i32 s60, 0x20                                       // 000000007480: B73C0020
	v_add_u32_e32 v226, 0x100, v222                            // 000000007484: 69C5BCFF 00000100
	v_accvgpr_read_b32 v8, a64                                 // 00000000748C: D3D84008 18000140
	v_accvgpr_read_b32 v9, a65                                 // 000000007494: D3D84009 18000141
	v_accvgpr_read_b32 v10, a66                                // 00000000749C: D3D8400A 18000142
	v_accvgpr_read_b32 v11, a67                                // 0000000074A4: D3D8400B 18000143
	v_accvgpr_read_b32 v12, a72                                // 0000000074AC: D3D8400C 18000148
	v_accvgpr_read_b32 v13, a73                                // 0000000074B4: D3D8400D 18000149
	v_accvgpr_read_b32 v14, a74                                // 0000000074BC: D3D8400E 1800014A
	v_accvgpr_read_b32 v15, a75                                // 0000000074C4: D3D8400F 1800014B
	v_cvt_pk_bf16_f32 v16, v8, v9                              // 0000000074CC: D2680010 00021308
	v_cvt_pk_bf16_f32 v17, v10, v11                            // 0000000074D4: D2680011 0002170A
	v_cvt_pk_bf16_f32 v18, v12, v13                            // 0000000074DC: D2680012 00021B0C
	v_cvt_pk_bf16_f32 v19, v14, v15                            // 0000000074E4: D2680013 00021F0E
	s_nop 1                                                    // 0000000074EC: BF800001
	v_permlane16_swap_b32_e32 v16, v18                         // 0000000074F0: 7E20B312
	s_nop 1                                                    // 0000000074F4: BF800001
	v_permlane16_swap_b32_e32 v17, v19                         // 0000000074F8: 7E22B313
	s_nop 1                                                    // 0000000074FC: BF800001
	buffer_store_dwordx4 v[16:19], v226, s[4:7], 0 offen       // 000000007500: E07C1000 800110E2
	v_add_u32_e32 v226, s62, v226                              // 000000007508: 69C5C43E
	v_accvgpr_read_b32 v8, a68                                 // 00000000750C: D3D84008 18000144
	v_accvgpr_read_b32 v9, a69                                 // 000000007514: D3D84009 18000145
	v_accvgpr_read_b32 v10, a70                                // 00000000751C: D3D8400A 18000146
	v_accvgpr_read_b32 v11, a71                                // 000000007524: D3D8400B 18000147
	v_accvgpr_read_b32 v12, a76                                // 00000000752C: D3D8400C 1800014C
	v_accvgpr_read_b32 v13, a77                                // 000000007534: D3D8400D 1800014D
	v_accvgpr_read_b32 v14, a78                                // 00000000753C: D3D8400E 1800014E
	v_accvgpr_read_b32 v15, a79                                // 000000007544: D3D8400F 1800014F
	v_cvt_pk_bf16_f32 v16, v8, v9                              // 00000000754C: D2680010 00021308
	v_cvt_pk_bf16_f32 v17, v10, v11                            // 000000007554: D2680011 0002170A
	v_cvt_pk_bf16_f32 v18, v12, v13                            // 00000000755C: D2680012 00021B0C
	v_cvt_pk_bf16_f32 v19, v14, v15                            // 000000007564: D2680013 00021F0E
	s_nop 1                                                    // 00000000756C: BF800001
	v_permlane16_swap_b32_e32 v16, v18                         // 000000007570: 7E20B312
	s_nop 1                                                    // 000000007574: BF800001
	v_permlane16_swap_b32_e32 v17, v19                         // 000000007578: 7E22B313
	s_nop 1                                                    // 00000000757C: BF800001
	buffer_store_dwordx4 v[16:19], v226, s[4:7], 0 offen       // 000000007580: E07C1000 800110E2
	v_add_u32_e32 v226, s62, v226                              // 000000007588: 69C5C43E
	v_accvgpr_read_b32 v8, a176                                // 00000000758C: D3D84008 180001B0
	v_accvgpr_read_b32 v9, a177                                // 000000007594: D3D84009 180001B1
	v_accvgpr_read_b32 v10, a178                               // 00000000759C: D3D8400A 180001B2
	v_accvgpr_read_b32 v11, a179                               // 0000000075A4: D3D8400B 180001B3
	v_accvgpr_read_b32 v12, a184                               // 0000000075AC: D3D8400C 180001B8
	v_accvgpr_read_b32 v13, a185                               // 0000000075B4: D3D8400D 180001B9
	v_accvgpr_read_b32 v14, a186                               // 0000000075BC: D3D8400E 180001BA
	v_accvgpr_read_b32 v15, a187                               // 0000000075C4: D3D8400F 180001BB
	v_cvt_pk_bf16_f32 v16, v8, v9                              // 0000000075CC: D2680010 00021308
	v_cvt_pk_bf16_f32 v17, v10, v11                            // 0000000075D4: D2680011 0002170A
	v_cvt_pk_bf16_f32 v18, v12, v13                            // 0000000075DC: D2680012 00021B0C
	v_cvt_pk_bf16_f32 v19, v14, v15                            // 0000000075E4: D2680013 00021F0E
	s_nop 1                                                    // 0000000075EC: BF800001
	v_permlane16_swap_b32_e32 v16, v18                         // 0000000075F0: 7E20B312
	s_nop 1                                                    // 0000000075F4: BF800001
	v_permlane16_swap_b32_e32 v17, v19                         // 0000000075F8: 7E22B313
	s_nop 1                                                    // 0000000075FC: BF800001
	buffer_store_dwordx4 v[16:19], v226, s[4:7], 0 offen       // 000000007600: E07C1000 800110E2
	v_add_u32_e32 v226, s62, v226                              // 000000007608: 69C5C43E
	v_accvgpr_read_b32 v8, a180                                // 00000000760C: D3D84008 180001B4
	v_accvgpr_read_b32 v9, a181                                // 000000007614: D3D84009 180001B5
	v_accvgpr_read_b32 v10, a182                               // 00000000761C: D3D8400A 180001B6
	v_accvgpr_read_b32 v11, a183                               // 000000007624: D3D8400B 180001B7
	v_accvgpr_read_b32 v12, a188                               // 00000000762C: D3D8400C 180001BC
	v_accvgpr_read_b32 v13, a189                               // 000000007634: D3D8400D 180001BD
	v_accvgpr_read_b32 v14, a190                               // 00000000763C: D3D8400E 180001BE
	v_accvgpr_read_b32 v15, a191                               // 000000007644: D3D8400F 180001BF
	v_cvt_pk_bf16_f32 v16, v8, v9                              // 00000000764C: D2680010 00021308
	v_cvt_pk_bf16_f32 v17, v10, v11                            // 000000007654: D2680011 0002170A
	v_cvt_pk_bf16_f32 v18, v12, v13                            // 00000000765C: D2680012 00021B0C
	v_cvt_pk_bf16_f32 v19, v14, v15                            // 000000007664: D2680013 00021F0E
	s_nop 1                                                    // 00000000766C: BF800001
	v_permlane16_swap_b32_e32 v16, v18                         // 000000007670: 7E20B312
	s_nop 1                                                    // 000000007674: BF800001
	v_permlane16_swap_b32_e32 v17, v19                         // 000000007678: 7E22B313
	s_nop 1                                                    // 00000000767C: BF800001
	buffer_store_dwordx4 v[16:19], v226, s[4:7], 0 offen       // 000000007680: E07C1000 800110E2
	v_add_u32_e32 v226, s62, v226                              // 000000007688: 69C5C43E
	s_cmp_lt_i32 s60, s44                                      // 00000000768C: BF042C3C
	s_cbranch_scc0 label_13AD                                  // 000000007690: BF840108
	s_addk_i32 s60, 0x20                                       // 000000007694: B73C0020
	v_add_u32_e32 v226, 0x140, v222                            // 000000007698: 69C5BCFF 00000140
	v_accvgpr_read_b32 v8, a80                                 // 0000000076A0: D3D84008 18000150
	v_accvgpr_read_b32 v9, a81                                 // 0000000076A8: D3D84009 18000151
	v_accvgpr_read_b32 v10, a82                                // 0000000076B0: D3D8400A 18000152
	v_accvgpr_read_b32 v11, a83                                // 0000000076B8: D3D8400B 18000153
	v_accvgpr_read_b32 v12, a88                                // 0000000076C0: D3D8400C 18000158
	v_accvgpr_read_b32 v13, a89                                // 0000000076C8: D3D8400D 18000159
	v_accvgpr_read_b32 v14, a90                                // 0000000076D0: D3D8400E 1800015A
	v_accvgpr_read_b32 v15, a91                                // 0000000076D8: D3D8400F 1800015B
	v_cvt_pk_bf16_f32 v16, v8, v9                              // 0000000076E0: D2680010 00021308
	v_cvt_pk_bf16_f32 v17, v10, v11                            // 0000000076E8: D2680011 0002170A
	v_cvt_pk_bf16_f32 v18, v12, v13                            // 0000000076F0: D2680012 00021B0C
	v_cvt_pk_bf16_f32 v19, v14, v15                            // 0000000076F8: D2680013 00021F0E
	s_nop 1                                                    // 000000007700: BF800001
	v_permlane16_swap_b32_e32 v16, v18                         // 000000007704: 7E20B312
	s_nop 1                                                    // 000000007708: BF800001
	v_permlane16_swap_b32_e32 v17, v19                         // 00000000770C: 7E22B313
	s_nop 1                                                    // 000000007710: BF800001
	buffer_store_dwordx4 v[16:19], v226, s[4:7], 0 offen       // 000000007714: E07C1000 800110E2
	v_add_u32_e32 v226, s62, v226                              // 00000000771C: 69C5C43E
	v_accvgpr_read_b32 v8, a84                                 // 000000007720: D3D84008 18000154
	v_accvgpr_read_b32 v9, a85                                 // 000000007728: D3D84009 18000155
	v_accvgpr_read_b32 v10, a86                                // 000000007730: D3D8400A 18000156
	v_accvgpr_read_b32 v11, a87                                // 000000007738: D3D8400B 18000157
	v_accvgpr_read_b32 v12, a92                                // 000000007740: D3D8400C 1800015C
	v_accvgpr_read_b32 v13, a93                                // 000000007748: D3D8400D 1800015D
	v_accvgpr_read_b32 v14, a94                                // 000000007750: D3D8400E 1800015E
	v_accvgpr_read_b32 v15, a95                                // 000000007758: D3D8400F 1800015F
	v_cvt_pk_bf16_f32 v16, v8, v9                              // 000000007760: D2680010 00021308
	v_cvt_pk_bf16_f32 v17, v10, v11                            // 000000007768: D2680011 0002170A
	v_cvt_pk_bf16_f32 v18, v12, v13                            // 000000007770: D2680012 00021B0C
	v_cvt_pk_bf16_f32 v19, v14, v15                            // 000000007778: D2680013 00021F0E
	s_nop 1                                                    // 000000007780: BF800001
	v_permlane16_swap_b32_e32 v16, v18                         // 000000007784: 7E20B312
	s_nop 1                                                    // 000000007788: BF800001
	v_permlane16_swap_b32_e32 v17, v19                         // 00000000778C: 7E22B313
	s_nop 1                                                    // 000000007790: BF800001
	buffer_store_dwordx4 v[16:19], v226, s[4:7], 0 offen       // 000000007794: E07C1000 800110E2
	v_add_u32_e32 v226, s62, v226                              // 00000000779C: 69C5C43E
	v_accvgpr_read_b32 v8, a192                                // 0000000077A0: D3D84008 180001C0
	v_accvgpr_read_b32 v9, a193                                // 0000000077A8: D3D84009 180001C1
	v_accvgpr_read_b32 v10, a194                               // 0000000077B0: D3D8400A 180001C2
	v_accvgpr_read_b32 v11, a195                               // 0000000077B8: D3D8400B 180001C3
	v_accvgpr_read_b32 v12, a200                               // 0000000077C0: D3D8400C 180001C8
	v_accvgpr_read_b32 v13, a201                               // 0000000077C8: D3D8400D 180001C9
	v_accvgpr_read_b32 v14, a202                               // 0000000077D0: D3D8400E 180001CA
	v_accvgpr_read_b32 v15, a203                               // 0000000077D8: D3D8400F 180001CB
	v_cvt_pk_bf16_f32 v16, v8, v9                              // 0000000077E0: D2680010 00021308
	v_cvt_pk_bf16_f32 v17, v10, v11                            // 0000000077E8: D2680011 0002170A
	v_cvt_pk_bf16_f32 v18, v12, v13                            // 0000000077F0: D2680012 00021B0C
	v_cvt_pk_bf16_f32 v19, v14, v15                            // 0000000077F8: D2680013 00021F0E
	s_nop 1                                                    // 000000007800: BF800001
	v_permlane16_swap_b32_e32 v16, v18                         // 000000007804: 7E20B312
	s_nop 1                                                    // 000000007808: BF800001
	v_permlane16_swap_b32_e32 v17, v19                         // 00000000780C: 7E22B313
	s_nop 1                                                    // 000000007810: BF800001
	buffer_store_dwordx4 v[16:19], v226, s[4:7], 0 offen       // 000000007814: E07C1000 800110E2
	v_add_u32_e32 v226, s62, v226                              // 00000000781C: 69C5C43E
	v_accvgpr_read_b32 v8, a196                                // 000000007820: D3D84008 180001C4
	v_accvgpr_read_b32 v9, a197                                // 000000007828: D3D84009 180001C5
	v_accvgpr_read_b32 v10, a198                               // 000000007830: D3D8400A 180001C6
	v_accvgpr_read_b32 v11, a199                               // 000000007838: D3D8400B 180001C7
	v_accvgpr_read_b32 v12, a204                               // 000000007840: D3D8400C 180001CC
	v_accvgpr_read_b32 v13, a205                               // 000000007848: D3D8400D 180001CD
	v_accvgpr_read_b32 v14, a206                               // 000000007850: D3D8400E 180001CE
	v_accvgpr_read_b32 v15, a207                               // 000000007858: D3D8400F 180001CF
	v_cvt_pk_bf16_f32 v16, v8, v9                              // 000000007860: D2680010 00021308
	v_cvt_pk_bf16_f32 v17, v10, v11                            // 000000007868: D2680011 0002170A
	v_cvt_pk_bf16_f32 v18, v12, v13                            // 000000007870: D2680012 00021B0C
	v_cvt_pk_bf16_f32 v19, v14, v15                            // 000000007878: D2680013 00021F0E
	s_nop 1                                                    // 000000007880: BF800001
	v_permlane16_swap_b32_e32 v16, v18                         // 000000007884: 7E20B312
	s_nop 1                                                    // 000000007888: BF800001
	v_permlane16_swap_b32_e32 v17, v19                         // 00000000788C: 7E22B313
	s_nop 1                                                    // 000000007890: BF800001
	buffer_store_dwordx4 v[16:19], v226, s[4:7], 0 offen       // 000000007894: E07C1000 800110E2
	v_add_u32_e32 v226, s62, v226                              // 00000000789C: 69C5C43E
	s_cmp_lt_i32 s60, s44                                      // 0000000078A0: BF042C3C
	s_cbranch_scc0 label_13AD                                  // 0000000078A4: BF840083
	s_addk_i32 s60, 0x20                                       // 0000000078A8: B73C0020
	v_add_u32_e32 v226, 0x180, v222                            // 0000000078AC: 69C5BCFF 00000180
	v_accvgpr_read_b32 v8, a96                                 // 0000000078B4: D3D84008 18000160
	v_accvgpr_read_b32 v9, a97                                 // 0000000078BC: D3D84009 18000161
	v_accvgpr_read_b32 v10, a98                                // 0000000078C4: D3D8400A 18000162
	v_accvgpr_read_b32 v11, a99                                // 0000000078CC: D3D8400B 18000163
	v_accvgpr_read_b32 v12, a104                               // 0000000078D4: D3D8400C 18000168
	v_accvgpr_read_b32 v13, a105                               // 0000000078DC: D3D8400D 18000169
	v_accvgpr_read_b32 v14, a106                               // 0000000078E4: D3D8400E 1800016A
	v_accvgpr_read_b32 v15, a107                               // 0000000078EC: D3D8400F 1800016B
	v_cvt_pk_bf16_f32 v16, v8, v9                              // 0000000078F4: D2680010 00021308
	v_cvt_pk_bf16_f32 v17, v10, v11                            // 0000000078FC: D2680011 0002170A
	v_cvt_pk_bf16_f32 v18, v12, v13                            // 000000007904: D2680012 00021B0C
	v_cvt_pk_bf16_f32 v19, v14, v15                            // 00000000790C: D2680013 00021F0E
	s_nop 1                                                    // 000000007914: BF800001
	v_permlane16_swap_b32_e32 v16, v18                         // 000000007918: 7E20B312
	s_nop 1                                                    // 00000000791C: BF800001
	v_permlane16_swap_b32_e32 v17, v19                         // 000000007920: 7E22B313
	s_nop 1                                                    // 000000007924: BF800001
	buffer_store_dwordx4 v[16:19], v226, s[4:7], 0 offen       // 000000007928: E07C1000 800110E2
	v_add_u32_e32 v226, s62, v226                              // 000000007930: 69C5C43E
	v_accvgpr_read_b32 v8, a100                                // 000000007934: D3D84008 18000164
	v_accvgpr_read_b32 v9, a101                                // 00000000793C: D3D84009 18000165
	v_accvgpr_read_b32 v10, a102                               // 000000007944: D3D8400A 18000166
	v_accvgpr_read_b32 v11, a103                               // 00000000794C: D3D8400B 18000167
	v_accvgpr_read_b32 v12, a108                               // 000000007954: D3D8400C 1800016C
	v_accvgpr_read_b32 v13, a109                               // 00000000795C: D3D8400D 1800016D
	v_accvgpr_read_b32 v14, a110                               // 000000007964: D3D8400E 1800016E
	v_accvgpr_read_b32 v15, a111                               // 00000000796C: D3D8400F 1800016F
	v_cvt_pk_bf16_f32 v16, v8, v9                              // 000000007974: D2680010 00021308
	v_cvt_pk_bf16_f32 v17, v10, v11                            // 00000000797C: D2680011 0002170A
	v_cvt_pk_bf16_f32 v18, v12, v13                            // 000000007984: D2680012 00021B0C
	v_cvt_pk_bf16_f32 v19, v14, v15                            // 00000000798C: D2680013 00021F0E
	s_nop 1                                                    // 000000007994: BF800001
	v_permlane16_swap_b32_e32 v16, v18                         // 000000007998: 7E20B312
	s_nop 1                                                    // 00000000799C: BF800001
	v_permlane16_swap_b32_e32 v17, v19                         // 0000000079A0: 7E22B313
	s_nop 1                                                    // 0000000079A4: BF800001
	buffer_store_dwordx4 v[16:19], v226, s[4:7], 0 offen       // 0000000079A8: E07C1000 800110E2
	v_add_u32_e32 v226, s62, v226                              // 0000000079B0: 69C5C43E
	v_accvgpr_read_b32 v8, a208                                // 0000000079B4: D3D84008 180001D0
	v_accvgpr_read_b32 v9, a209                                // 0000000079BC: D3D84009 180001D1
	v_accvgpr_read_b32 v10, a210                               // 0000000079C4: D3D8400A 180001D2
	v_accvgpr_read_b32 v11, a211                               // 0000000079CC: D3D8400B 180001D3
	v_accvgpr_read_b32 v12, a216                               // 0000000079D4: D3D8400C 180001D8
	v_accvgpr_read_b32 v13, a217                               // 0000000079DC: D3D8400D 180001D9
	v_accvgpr_read_b32 v14, a218                               // 0000000079E4: D3D8400E 180001DA
	v_accvgpr_read_b32 v15, a219                               // 0000000079EC: D3D8400F 180001DB
	v_cvt_pk_bf16_f32 v16, v8, v9                              // 0000000079F4: D2680010 00021308
	v_cvt_pk_bf16_f32 v17, v10, v11                            // 0000000079FC: D2680011 0002170A
	v_cvt_pk_bf16_f32 v18, v12, v13                            // 000000007A04: D2680012 00021B0C
	v_cvt_pk_bf16_f32 v19, v14, v15                            // 000000007A0C: D2680013 00021F0E
	s_nop 1                                                    // 000000007A14: BF800001
	v_permlane16_swap_b32_e32 v16, v18                         // 000000007A18: 7E20B312
	s_nop 1                                                    // 000000007A1C: BF800001
	v_permlane16_swap_b32_e32 v17, v19                         // 000000007A20: 7E22B313
	s_nop 1                                                    // 000000007A24: BF800001
	buffer_store_dwordx4 v[16:19], v226, s[4:7], 0 offen       // 000000007A28: E07C1000 800110E2
	v_add_u32_e32 v226, s62, v226                              // 000000007A30: 69C5C43E
	v_accvgpr_read_b32 v8, a212                                // 000000007A34: D3D84008 180001D4
	v_accvgpr_read_b32 v9, a213                                // 000000007A3C: D3D84009 180001D5
	v_accvgpr_read_b32 v10, a214                               // 000000007A44: D3D8400A 180001D6
	v_accvgpr_read_b32 v11, a215                               // 000000007A4C: D3D8400B 180001D7
	v_accvgpr_read_b32 v12, a220                               // 000000007A54: D3D8400C 180001DC
	v_accvgpr_read_b32 v13, a221                               // 000000007A5C: D3D8400D 180001DD
	v_accvgpr_read_b32 v14, a222                               // 000000007A64: D3D8400E 180001DE
	v_accvgpr_read_b32 v15, a223                               // 000000007A6C: D3D8400F 180001DF
	v_cvt_pk_bf16_f32 v16, v8, v9                              // 000000007A74: D2680010 00021308
	v_cvt_pk_bf16_f32 v17, v10, v11                            // 000000007A7C: D2680011 0002170A
	v_cvt_pk_bf16_f32 v18, v12, v13                            // 000000007A84: D2680012 00021B0C
	v_cvt_pk_bf16_f32 v19, v14, v15                            // 000000007A8C: D2680013 00021F0E
	s_nop 1                                                    // 000000007A94: BF800001
	v_permlane16_swap_b32_e32 v16, v18                         // 000000007A98: 7E20B312
	s_nop 1                                                    // 000000007A9C: BF800001
	v_permlane16_swap_b32_e32 v17, v19                         // 000000007AA0: 7E22B313
	s_nop 1                                                    // 000000007AA4: BF800001
	buffer_store_dwordx4 v[16:19], v226, s[4:7], 0 offen       // 000000007AA8: E07C1000 800110E2
	v_add_u32_e32 v226, s62, v226                              // 000000007AB0: 69C5C43E

0000000000007ab4 <label_13AD>:
	s_waitcnt vmcnt(0) expcnt(0) lgkmcnt(0)                    // 000000007AB4: BF8C0000
	s_endpgm                                                   // 000000007AB8: BF810000
